;; amdgpu-corpus repo=ROCm/rocFFT kind=compiled arch=gfx906 opt=O3
	.text
	.amdgcn_target "amdgcn-amd-amdhsa--gfx906"
	.amdhsa_code_object_version 6
	.protected	fft_rtc_fwd_len816_factors_17_2_3_2_2_2_wgs_51_tpt_51_halfLds_half_op_CI_CI_sbrr_dirReg ; -- Begin function fft_rtc_fwd_len816_factors_17_2_3_2_2_2_wgs_51_tpt_51_halfLds_half_op_CI_CI_sbrr_dirReg
	.globl	fft_rtc_fwd_len816_factors_17_2_3_2_2_2_wgs_51_tpt_51_halfLds_half_op_CI_CI_sbrr_dirReg
	.p2align	8
	.type	fft_rtc_fwd_len816_factors_17_2_3_2_2_2_wgs_51_tpt_51_halfLds_half_op_CI_CI_sbrr_dirReg,@function
fft_rtc_fwd_len816_factors_17_2_3_2_2_2_wgs_51_tpt_51_halfLds_half_op_CI_CI_sbrr_dirReg: ; @fft_rtc_fwd_len816_factors_17_2_3_2_2_2_wgs_51_tpt_51_halfLds_half_op_CI_CI_sbrr_dirReg
; %bb.0:
	s_load_dwordx4 s[16:19], s[4:5], 0x18
	s_load_dwordx4 s[12:15], s[4:5], 0x0
	;; [unrolled: 1-line block ×3, first 2 shown]
	v_mul_u32_u24_e32 v1, 0x506, v0
	v_mov_b32_e32 v3, 0
	s_waitcnt lgkmcnt(0)
	s_load_dwordx2 s[22:23], s[16:17], 0x0
	s_load_dwordx2 s[20:21], s[18:19], 0x0
	v_cmp_lt_u64_e64 s[0:1], s[14:15], 2
	v_mov_b32_e32 v7, 0
	v_add_u32_sdwa v9, s6, v1 dst_sel:DWORD dst_unused:UNUSED_PAD src0_sel:DWORD src1_sel:WORD_1
	v_mov_b32_e32 v10, v3
	s_and_b64 vcc, exec, s[0:1]
	v_mov_b32_e32 v8, 0
	s_cbranch_vccnz .LBB0_8
; %bb.1:
	s_load_dwordx2 s[0:1], s[4:5], 0x10
	s_add_u32 s2, s18, 8
	s_addc_u32 s3, s19, 0
	s_add_u32 s6, s16, 8
	s_addc_u32 s7, s17, 0
	v_mov_b32_e32 v7, 0
	s_waitcnt lgkmcnt(0)
	s_add_u32 s24, s0, 8
	v_mov_b32_e32 v8, 0
	v_mov_b32_e32 v1, v7
	s_addc_u32 s25, s1, 0
	s_mov_b64 s[26:27], 1
	v_mov_b32_e32 v2, v8
.LBB0_2:                                ; =>This Inner Loop Header: Depth=1
	s_load_dwordx2 s[28:29], s[24:25], 0x0
                                        ; implicit-def: $vgpr5_vgpr6
	s_waitcnt lgkmcnt(0)
	v_or_b32_e32 v4, s29, v10
	v_cmp_ne_u64_e32 vcc, 0, v[3:4]
	s_and_saveexec_b64 s[0:1], vcc
	s_xor_b64 s[30:31], exec, s[0:1]
	s_cbranch_execz .LBB0_4
; %bb.3:                                ;   in Loop: Header=BB0_2 Depth=1
	v_cvt_f32_u32_e32 v4, s28
	v_cvt_f32_u32_e32 v5, s29
	s_sub_u32 s0, 0, s28
	s_subb_u32 s1, 0, s29
	v_mac_f32_e32 v4, 0x4f800000, v5
	v_rcp_f32_e32 v4, v4
	v_mul_f32_e32 v4, 0x5f7ffffc, v4
	v_mul_f32_e32 v5, 0x2f800000, v4
	v_trunc_f32_e32 v5, v5
	v_mac_f32_e32 v4, 0xcf800000, v5
	v_cvt_u32_f32_e32 v5, v5
	v_cvt_u32_f32_e32 v4, v4
	v_mul_lo_u32 v6, s0, v5
	v_mul_hi_u32 v11, s0, v4
	v_mul_lo_u32 v13, s1, v4
	v_mul_lo_u32 v12, s0, v4
	v_add_u32_e32 v6, v11, v6
	v_add_u32_e32 v6, v6, v13
	v_mul_hi_u32 v11, v4, v12
	v_mul_lo_u32 v13, v4, v6
	v_mul_hi_u32 v15, v4, v6
	v_mul_hi_u32 v14, v5, v12
	v_mul_lo_u32 v12, v5, v12
	v_mul_hi_u32 v16, v5, v6
	v_add_co_u32_e32 v11, vcc, v11, v13
	v_addc_co_u32_e32 v13, vcc, 0, v15, vcc
	v_mul_lo_u32 v6, v5, v6
	v_add_co_u32_e32 v11, vcc, v11, v12
	v_addc_co_u32_e32 v11, vcc, v13, v14, vcc
	v_addc_co_u32_e32 v12, vcc, 0, v16, vcc
	v_add_co_u32_e32 v6, vcc, v11, v6
	v_addc_co_u32_e32 v11, vcc, 0, v12, vcc
	v_add_co_u32_e32 v4, vcc, v4, v6
	v_addc_co_u32_e32 v5, vcc, v5, v11, vcc
	v_mul_lo_u32 v6, s0, v5
	v_mul_hi_u32 v11, s0, v4
	v_mul_lo_u32 v12, s1, v4
	v_mul_lo_u32 v13, s0, v4
	v_add_u32_e32 v6, v11, v6
	v_add_u32_e32 v6, v6, v12
	v_mul_lo_u32 v14, v4, v6
	v_mul_hi_u32 v15, v4, v13
	v_mul_hi_u32 v16, v4, v6
	;; [unrolled: 1-line block ×3, first 2 shown]
	v_mul_lo_u32 v13, v5, v13
	v_mul_hi_u32 v11, v5, v6
	v_add_co_u32_e32 v14, vcc, v15, v14
	v_addc_co_u32_e32 v15, vcc, 0, v16, vcc
	v_mul_lo_u32 v6, v5, v6
	v_add_co_u32_e32 v13, vcc, v14, v13
	v_addc_co_u32_e32 v12, vcc, v15, v12, vcc
	v_addc_co_u32_e32 v11, vcc, 0, v11, vcc
	v_add_co_u32_e32 v6, vcc, v12, v6
	v_addc_co_u32_e32 v11, vcc, 0, v11, vcc
	v_add_co_u32_e32 v6, vcc, v4, v6
	v_addc_co_u32_e32 v11, vcc, v5, v11, vcc
	v_mad_u64_u32 v[4:5], s[0:1], v9, v11, 0
	v_mul_hi_u32 v12, v9, v6
	v_add_co_u32_e32 v13, vcc, v12, v4
	v_addc_co_u32_e32 v14, vcc, 0, v5, vcc
	v_mad_u64_u32 v[4:5], s[0:1], v10, v6, 0
	v_mad_u64_u32 v[11:12], s[0:1], v10, v11, 0
	v_add_co_u32_e32 v4, vcc, v13, v4
	v_addc_co_u32_e32 v4, vcc, v14, v5, vcc
	v_addc_co_u32_e32 v5, vcc, 0, v12, vcc
	v_add_co_u32_e32 v11, vcc, v4, v11
	v_addc_co_u32_e32 v6, vcc, 0, v5, vcc
	v_mul_lo_u32 v12, s29, v11
	v_mul_lo_u32 v13, s28, v6
	v_mad_u64_u32 v[4:5], s[0:1], s28, v11, 0
	v_add3_u32 v5, v5, v13, v12
	v_sub_u32_e32 v12, v10, v5
	v_mov_b32_e32 v13, s29
	v_sub_co_u32_e32 v4, vcc, v9, v4
	v_subb_co_u32_e64 v12, s[0:1], v12, v13, vcc
	v_subrev_co_u32_e64 v13, s[0:1], s28, v4
	v_subbrev_co_u32_e64 v12, s[0:1], 0, v12, s[0:1]
	v_cmp_le_u32_e64 s[0:1], s29, v12
	v_cndmask_b32_e64 v14, 0, -1, s[0:1]
	v_cmp_le_u32_e64 s[0:1], s28, v13
	v_cndmask_b32_e64 v13, 0, -1, s[0:1]
	v_cmp_eq_u32_e64 s[0:1], s29, v12
	v_cndmask_b32_e64 v12, v14, v13, s[0:1]
	v_add_co_u32_e64 v13, s[0:1], 2, v11
	v_addc_co_u32_e64 v14, s[0:1], 0, v6, s[0:1]
	v_add_co_u32_e64 v15, s[0:1], 1, v11
	v_addc_co_u32_e64 v16, s[0:1], 0, v6, s[0:1]
	v_subb_co_u32_e32 v5, vcc, v10, v5, vcc
	v_cmp_ne_u32_e64 s[0:1], 0, v12
	v_cmp_le_u32_e32 vcc, s29, v5
	v_cndmask_b32_e64 v12, v16, v14, s[0:1]
	v_cndmask_b32_e64 v14, 0, -1, vcc
	v_cmp_le_u32_e32 vcc, s28, v4
	v_cndmask_b32_e64 v4, 0, -1, vcc
	v_cmp_eq_u32_e32 vcc, s29, v5
	v_cndmask_b32_e32 v4, v14, v4, vcc
	v_cmp_ne_u32_e32 vcc, 0, v4
	v_cndmask_b32_e64 v4, v15, v13, s[0:1]
	v_cndmask_b32_e32 v6, v6, v12, vcc
	v_cndmask_b32_e32 v5, v11, v4, vcc
.LBB0_4:                                ;   in Loop: Header=BB0_2 Depth=1
	s_andn2_saveexec_b64 s[0:1], s[30:31]
	s_cbranch_execz .LBB0_6
; %bb.5:                                ;   in Loop: Header=BB0_2 Depth=1
	v_cvt_f32_u32_e32 v4, s28
	s_sub_i32 s30, 0, s28
	v_rcp_iflag_f32_e32 v4, v4
	v_mul_f32_e32 v4, 0x4f7ffffe, v4
	v_cvt_u32_f32_e32 v4, v4
	v_mul_lo_u32 v5, s30, v4
	v_mul_hi_u32 v5, v4, v5
	v_add_u32_e32 v4, v4, v5
	v_mul_hi_u32 v4, v9, v4
	v_mul_lo_u32 v5, v4, s28
	v_add_u32_e32 v6, 1, v4
	v_sub_u32_e32 v5, v9, v5
	v_subrev_u32_e32 v11, s28, v5
	v_cmp_le_u32_e32 vcc, s28, v5
	v_cndmask_b32_e32 v5, v5, v11, vcc
	v_cndmask_b32_e32 v4, v4, v6, vcc
	v_add_u32_e32 v6, 1, v4
	v_cmp_le_u32_e32 vcc, s28, v5
	v_cndmask_b32_e32 v5, v4, v6, vcc
	v_mov_b32_e32 v6, v3
.LBB0_6:                                ;   in Loop: Header=BB0_2 Depth=1
	s_or_b64 exec, exec, s[0:1]
	v_mul_lo_u32 v4, v6, s28
	v_mul_lo_u32 v13, v5, s29
	v_mad_u64_u32 v[11:12], s[0:1], v5, s28, 0
	s_load_dwordx2 s[0:1], s[6:7], 0x0
	s_load_dwordx2 s[28:29], s[2:3], 0x0
	v_add3_u32 v4, v12, v13, v4
	v_sub_co_u32_e32 v9, vcc, v9, v11
	v_subb_co_u32_e32 v4, vcc, v10, v4, vcc
	s_waitcnt lgkmcnt(0)
	v_mul_lo_u32 v10, s0, v4
	v_mul_lo_u32 v11, s1, v9
	v_mad_u64_u32 v[7:8], s[0:1], s0, v9, v[7:8]
	s_add_u32 s26, s26, 1
	s_addc_u32 s27, s27, 0
	s_add_u32 s2, s2, 8
	v_mul_lo_u32 v4, s28, v4
	v_mul_lo_u32 v12, s29, v9
	v_mad_u64_u32 v[1:2], s[0:1], s28, v9, v[1:2]
	v_add3_u32 v8, v11, v8, v10
	s_addc_u32 s3, s3, 0
	v_mov_b32_e32 v9, s14
	s_add_u32 s6, s6, 8
	v_mov_b32_e32 v10, s15
	s_addc_u32 s7, s7, 0
	v_cmp_ge_u64_e32 vcc, s[26:27], v[9:10]
	s_add_u32 s24, s24, 8
	v_add3_u32 v2, v12, v2, v4
	s_addc_u32 s25, s25, 0
	s_cbranch_vccnz .LBB0_9
; %bb.7:                                ;   in Loop: Header=BB0_2 Depth=1
	v_mov_b32_e32 v10, v6
	v_mov_b32_e32 v9, v5
	s_branch .LBB0_2
.LBB0_8:
	v_mov_b32_e32 v1, v7
	v_mov_b32_e32 v5, v9
	;; [unrolled: 1-line block ×4, first 2 shown]
.LBB0_9:
	s_load_dwordx2 s[0:1], s[4:5], 0x28
	s_mov_b32 s4, 0x5050506
	v_mul_hi_u32 v3, v0, s4
	s_lshl_b64 s[2:3], s[14:15], 3
	s_add_u32 s4, s18, s2
	s_waitcnt lgkmcnt(0)
	v_cmp_gt_u64_e32 vcc, s[0:1], v[5:6]
	v_mul_u32_u24_e32 v3, 51, v3
	v_sub_u32_e32 v3, v0, v3
	v_cmp_gt_u32_e64 s[0:1], 48, v3
	s_addc_u32 s5, s19, s3
	s_and_b64 s[14:15], vcc, s[0:1]
	v_mov_b32_e32 v16, 0
	v_mov_b32_e32 v15, 0
                                        ; implicit-def: $vgpr17
                                        ; implicit-def: $vgpr0
                                        ; implicit-def: $vgpr18
                                        ; implicit-def: $vgpr9
                                        ; implicit-def: $vgpr19
                                        ; implicit-def: $vgpr10
                                        ; implicit-def: $vgpr20
                                        ; implicit-def: $vgpr11
                                        ; implicit-def: $vgpr21
                                        ; implicit-def: $vgpr12
                                        ; implicit-def: $vgpr22
                                        ; implicit-def: $vgpr13
                                        ; implicit-def: $vgpr23
                                        ; implicit-def: $vgpr14
                                        ; implicit-def: $vgpr24
                                        ; implicit-def: $vgpr33
                                        ; implicit-def: $vgpr25
                                        ; implicit-def: $vgpr34
                                        ; implicit-def: $vgpr26
                                        ; implicit-def: $vgpr35
                                        ; implicit-def: $vgpr27
                                        ; implicit-def: $vgpr36
                                        ; implicit-def: $vgpr28
                                        ; implicit-def: $vgpr37
                                        ; implicit-def: $vgpr29
                                        ; implicit-def: $vgpr38
                                        ; implicit-def: $vgpr30
                                        ; implicit-def: $vgpr39
                                        ; implicit-def: $vgpr31
                                        ; implicit-def: $vgpr40
                                        ; implicit-def: $vgpr32
                                        ; implicit-def: $vgpr41
	s_and_saveexec_b64 s[6:7], s[14:15]
	s_cbranch_execz .LBB0_11
; %bb.10:
	s_add_u32 s2, s16, s2
	s_addc_u32 s3, s17, s3
	s_load_dwordx2 s[2:3], s[2:3], 0x0
	v_mad_u64_u32 v[9:10], s[14:15], s22, v3, 0
	v_lshlrev_b64 v[7:8], 2, v[7:8]
	v_mov_b32_e32 v0, v10
	s_waitcnt lgkmcnt(0)
	v_mul_lo_u32 v4, s3, v5
	v_mul_lo_u32 v15, s2, v6
	v_mad_u64_u32 v[11:12], s[2:3], s2, v5, 0
	v_mad_u64_u32 v[13:14], s[2:3], s23, v3, v[0:1]
	v_add3_u32 v12, v12, v15, v4
	v_lshlrev_b64 v[11:12], 2, v[11:12]
	v_mov_b32_e32 v10, v13
	v_mov_b32_e32 v0, s9
	v_add_co_u32_e64 v4, s[2:3], s8, v11
	v_add_u32_e32 v13, 48, v3
	v_addc_co_u32_e64 v0, s[2:3], v0, v12, s[2:3]
	v_mad_u64_u32 v[11:12], s[2:3], s22, v13, 0
	v_add_co_u32_e64 v41, s[2:3], v4, v7
	v_addc_co_u32_e64 v42, s[2:3], v0, v8, s[2:3]
	v_mov_b32_e32 v0, v12
	v_add_u32_e32 v4, 0x60, v3
	v_lshlrev_b64 v[7:8], 2, v[9:10]
	v_mad_u64_u32 v[9:10], s[2:3], s23, v13, v[0:1]
	v_mad_u64_u32 v[13:14], s[2:3], s22, v4, 0
	v_add_co_u32_e64 v7, s[2:3], v41, v7
	v_mov_b32_e32 v12, v9
	v_mov_b32_e32 v0, v14
	v_addc_co_u32_e64 v8, s[2:3], v42, v8, s[2:3]
	v_lshlrev_b64 v[9:10], 2, v[11:12]
	v_mad_u64_u32 v[11:12], s[2:3], s23, v4, v[0:1]
	v_add_u32_e32 v4, 0x90, v3
	v_mad_u64_u32 v[15:16], s[2:3], s22, v4, 0
	v_add_co_u32_e64 v17, s[2:3], v41, v9
	v_mov_b32_e32 v0, v16
	v_addc_co_u32_e64 v18, s[2:3], v42, v10, s[2:3]
	v_mov_b32_e32 v14, v11
	v_mad_u64_u32 v[11:12], s[2:3], s23, v4, v[0:1]
	v_or_b32_e32 v4, 0xc0, v3
	v_lshlrev_b64 v[9:10], 2, v[13:14]
	v_mad_u64_u32 v[12:13], s[2:3], s22, v4, 0
	v_add_co_u32_e64 v19, s[2:3], v41, v9
	v_mov_b32_e32 v0, v13
	v_addc_co_u32_e64 v20, s[2:3], v42, v10, s[2:3]
	v_mov_b32_e32 v16, v11
	v_mad_u64_u32 v[13:14], s[2:3], s23, v4, v[0:1]
	v_add_u32_e32 v4, 0xf0, v3
	v_lshlrev_b64 v[9:10], 2, v[15:16]
	v_mad_u64_u32 v[14:15], s[2:3], s22, v4, 0
	v_add_co_u32_e64 v21, s[2:3], v41, v9
	v_mov_b32_e32 v0, v15
	v_addc_co_u32_e64 v22, s[2:3], v42, v10, s[2:3]
	v_lshlrev_b64 v[9:10], 2, v[12:13]
	v_mad_u64_u32 v[11:12], s[2:3], s23, v4, v[0:1]
	v_add_u32_e32 v4, 0x120, v3
	v_mad_u64_u32 v[12:13], s[2:3], s22, v4, 0
	v_add_co_u32_e64 v23, s[2:3], v41, v9
	v_mov_b32_e32 v15, v11
	v_mov_b32_e32 v0, v13
	v_addc_co_u32_e64 v24, s[2:3], v42, v10, s[2:3]
	v_lshlrev_b64 v[9:10], 2, v[14:15]
	v_mad_u64_u32 v[13:14], s[2:3], s23, v4, v[0:1]
	v_add_u32_e32 v4, 0x150, v3
	v_mad_u64_u32 v[14:15], s[2:3], s22, v4, 0
	v_add_co_u32_e64 v25, s[2:3], v41, v9
	v_mov_b32_e32 v0, v15
	v_addc_co_u32_e64 v26, s[2:3], v42, v10, s[2:3]
	v_lshlrev_b64 v[9:10], 2, v[12:13]
	v_mad_u64_u32 v[11:12], s[2:3], s23, v4, v[0:1]
	v_add_co_u32_e64 v27, s[2:3], v41, v9
	v_or_b32_e32 v4, 0x180, v3
	v_addc_co_u32_e64 v28, s[2:3], v42, v10, s[2:3]
	v_mad_u64_u32 v[29:30], s[2:3], s22, v4, 0
	v_mov_b32_e32 v15, v11
	v_lshlrev_b64 v[9:10], 2, v[14:15]
	v_mov_b32_e32 v0, v30
	v_add_co_u32_e64 v31, s[2:3], v41, v9
	v_addc_co_u32_e64 v32, s[2:3], v42, v10, s[2:3]
	v_mad_u64_u32 v[33:34], s[2:3], s23, v4, v[0:1]
	v_add_u32_e32 v16, 0x1b0, v3
	v_mad_u64_u32 v[34:35], s[2:3], s22, v16, 0
	global_load_dword v15, v[7:8], off
	global_load_dword v0, v[17:18], off
	;; [unrolled: 1-line block ×8, first 2 shown]
	v_add_u32_e32 v21, 0x1e0, v3
	v_mov_b32_e32 v4, v35
	v_mad_u64_u32 v[16:17], s[2:3], s23, v16, v[4:5]
	v_mad_u64_u32 v[17:18], s[2:3], s22, v21, 0
	v_mov_b32_e32 v30, v33
	v_lshlrev_b64 v[7:8], 2, v[29:30]
	v_mov_b32_e32 v4, v18
	v_add_co_u32_e64 v7, s[2:3], v41, v7
	v_addc_co_u32_e64 v8, s[2:3], v42, v8, s[2:3]
	v_mad_u64_u32 v[21:22], s[2:3], s23, v21, v[4:5]
	v_add_u32_e32 v24, 0x210, v3
	v_mad_u64_u32 v[22:23], s[2:3], s22, v24, 0
	v_mov_b32_e32 v35, v16
	v_lshlrev_b64 v[19:20], 2, v[34:35]
	v_mov_b32_e32 v18, v21
	v_add_co_u32_e64 v19, s[2:3], v41, v19
	v_mov_b32_e32 v4, v23
	v_addc_co_u32_e64 v20, s[2:3], v42, v20, s[2:3]
	v_lshlrev_b64 v[16:17], 2, v[17:18]
	v_mad_u64_u32 v[23:24], s[2:3], s23, v24, v[4:5]
	v_or_b32_e32 v18, 0x240, v3
	v_mad_u64_u32 v[24:25], s[2:3], s22, v18, 0
	v_add_co_u32_e64 v16, s[2:3], v41, v16
	v_mov_b32_e32 v4, v25
	v_addc_co_u32_e64 v17, s[2:3], v42, v17, s[2:3]
	v_mad_u64_u32 v[25:26], s[2:3], s23, v18, v[4:5]
	v_add_u32_e32 v18, 0x270, v3
	v_mad_u64_u32 v[26:27], s[2:3], s22, v18, 0
	v_lshlrev_b64 v[21:22], 2, v[22:23]
	v_lshlrev_b64 v[23:24], 2, v[24:25]
	v_add_co_u32_e64 v21, s[2:3], v41, v21
	v_mov_b32_e32 v4, v27
	v_addc_co_u32_e64 v22, s[2:3], v42, v22, s[2:3]
	v_mad_u64_u32 v[27:28], s[2:3], s23, v18, v[4:5]
	v_add_u32_e32 v18, 0x2a0, v3
	v_mad_u64_u32 v[28:29], s[2:3], s22, v18, 0
	v_add_co_u32_e64 v23, s[2:3], v41, v23
	v_mov_b32_e32 v4, v29
	v_addc_co_u32_e64 v24, s[2:3], v42, v24, s[2:3]
	v_mad_u64_u32 v[29:30], s[2:3], s23, v18, v[4:5]
	v_add_u32_e32 v18, 0x2d0, v3
	v_mad_u64_u32 v[30:31], s[2:3], s22, v18, 0
	v_lshlrev_b64 v[25:26], 2, v[26:27]
	v_lshlrev_b64 v[27:28], 2, v[28:29]
	v_add_co_u32_e64 v25, s[2:3], v41, v25
	v_mov_b32_e32 v4, v31
	v_addc_co_u32_e64 v26, s[2:3], v42, v26, s[2:3]
	v_mad_u64_u32 v[31:32], s[2:3], s23, v18, v[4:5]
	v_add_co_u32_e64 v27, s[2:3], v41, v27
	v_or_b32_e32 v18, 0x300, v3
	v_addc_co_u32_e64 v28, s[2:3], v42, v28, s[2:3]
	v_lshlrev_b64 v[29:30], 2, v[30:31]
	v_mad_u64_u32 v[31:32], s[2:3], s22, v18, 0
	v_add_co_u32_e64 v29, s[2:3], v41, v29
	v_mov_b32_e32 v4, v32
	v_addc_co_u32_e64 v30, s[2:3], v42, v30, s[2:3]
	v_mad_u64_u32 v[32:33], s[2:3], s23, v18, v[4:5]
	global_load_dword v33, v[7:8], off
	global_load_dword v34, v[19:20], off
	;; [unrolled: 1-line block ×8, first 2 shown]
	s_waitcnt vmcnt(15)
	v_lshrrev_b32_e32 v16, 16, v15
	v_lshlrev_b64 v[7:8], 2, v[31:32]
	s_waitcnt vmcnt(14)
	v_lshrrev_b32_e32 v17, 16, v0
	v_add_co_u32_e64 v7, s[2:3], v41, v7
	v_addc_co_u32_e64 v8, s[2:3], v42, v8, s[2:3]
	global_load_dword v41, v[7:8], off
	s_waitcnt vmcnt(14)
	v_lshrrev_b32_e32 v18, 16, v9
	s_waitcnt vmcnt(13)
	v_lshrrev_b32_e32 v19, 16, v10
	;; [unrolled: 2-line block ×15, first 2 shown]
.LBB0_11:
	s_or_b64 exec, exec, s[6:7]
	v_add_f16_e32 v7, v0, v41
	v_sub_f16_e32 v8, v17, v32
	v_mul_f16_e32 v56, 0x3b76, v7
	s_mov_b32 s2, 0xb5c8
	v_add_f16_e32 v42, v9, v40
	v_fma_f16 v4, v8, s2, v56
	v_sub_f16_e32 v43, v18, v31
	v_mul_f16_e32 v57, 0x39e9, v42
	s_mov_b32 s2, 0xb964
	v_add_f16_e32 v4, v15, v4
	v_fma_f16 v44, v43, s2, v57
	v_add_f16_e32 v4, v44, v4
	v_add_f16_e32 v44, v10, v39
	v_sub_f16_e32 v45, v19, v30
	v_mul_f16_e32 v58, 0x3722, v44
	s_mov_b32 s2, 0xbb29
	v_fma_f16 v46, v45, s2, v58
	v_add_f16_e32 v4, v46, v4
	v_add_f16_e32 v46, v11, v38
	s_mov_b32 s2, 0xbbf7
	v_sub_f16_e32 v47, v20, v29
	v_mul_f16_e32 v59, 0x2de8, v46
	v_fma_f16 v48, v47, s2, v59
	v_add_f16_e32 v4, v48, v4
	v_add_f16_e32 v48, v12, v37
	s_mov_b32 s2, 0xbbb2
	v_sub_f16_e32 v49, v21, v28
	v_mul_f16_e32 v60, 0xb461, v48
	v_fma_f16 v50, v49, s2, v60
	v_add_f16_e32 v4, v50, v4
	v_add_f16_e32 v50, v13, v36
	s_mov_b32 s2, 0xba62
	v_sub_f16_e32 v51, v22, v27
	v_mul_f16_e32 v61, 0xb8d2, v50
	v_fma_f16 v52, v51, s2, v61
	v_add_f16_e32 v4, v52, v4
	v_add_f16_e32 v52, v14, v35
	s_mov_b32 s2, 0xb836
	v_sub_f16_e32 v53, v23, v26
	v_mul_f16_e32 v62, 0xbacd, v52
	v_fma_f16 v54, v53, s2, v62
	v_add_f16_e32 v4, v54, v4
	v_add_f16_e32 v54, v33, v34
	s_mov_b32 s2, 0xb1e1
	v_sub_f16_e32 v55, v24, v25
	v_mul_f16_e32 v63, 0xbbdd, v54
	v_fma_f16 v64, v55, s2, v63
	v_add_f16_e32 v4, v64, v4
	s_movk_i32 s6, 0x3b76
	s_movk_i32 s16, 0x39e9
	;; [unrolled: 1-line block ×4, first 2 shown]
	s_mov_b32 s8, 0xb461
	s_mov_b32 s15, 0xb8d2
	;; [unrolled: 1-line block ×4, first 2 shown]
	s_and_saveexec_b64 s[2:3], s[0:1]
	s_cbranch_execz .LBB0_13
; %bb.12:
	s_mov_b32 s22, 0xbb29b964
	v_pk_mul_f16 v74, v8, s22 op_sel_hi:[0,1]
	s_mov_b32 s22, 0xba62bbf7
	s_mov_b32 s31, 0x372239e9
	v_pk_mul_f16 v75, v43, s22 op_sel_hi:[0,1]
	s_mov_b32 s22, 0x31e1ba62
	s_mov_b32 s33, 0xb8d22de8
	v_pk_fma_f16 v65, v7, s31, v74 op_sel_hi:[0,1,1] neg_lo:[0,0,1] neg_hi:[0,0,1]
	v_pk_mul_f16 v76, v45, s22 op_sel_hi:[0,1]
	s_mov_b32 s22, 0x3bb2b1e1
	v_pk_add_f16 v65, v15, v65 op_sel_hi:[0,1]
	v_pk_fma_f16 v66, v42, s33, v75 op_sel_hi:[0,1,1] neg_lo:[0,0,1] neg_hi:[0,0,1]
	s_mov_b32 s33, 0xbbddb8d2
	v_pk_mul_f16 v77, v47, s22 op_sel_hi:[0,1]
	s_mov_b32 s22, 0x39643836
	s_mov_b32 s28, 0xbbb23b29
	;; [unrolled: 1-line block ×3, first 2 shown]
	v_pk_add_f16 v65, v66, v65
	v_pk_fma_f16 v90, v44, s33, v76 op_sel_hi:[0,1,1] neg_lo:[0,0,1] neg_hi:[0,0,1]
	s_mov_b32 s34, 0xb461bbdd
	v_fma_f16 v74, v7, s16, v74
	v_pk_mul_f16 v78, v49, s22 op_sel_hi:[0,1]
	s_mov_b32 s22, 0xb5c83bb2
	v_pk_mul_f16 v89, v55, s28 op_sel_hi:[0,1]
	s_mov_b32 s28, 0xb4612de8
	v_pk_mul_f16 v64, v8, s29 op_sel_hi:[0,1]
	s_mov_b32 s30, 0xb83631e1
	v_pk_add_f16 v65, v90, v65
	v_pk_fma_f16 v91, v46, s34, v77 op_sel_hi:[0,1,1] neg_lo:[0,0,1] neg_hi:[0,0,1]
	s_mov_b32 s35, 0x39e9bacd
	v_add_f16_e32 v74, v15, v74
	v_fma_f16 v75, v42, s17, v75
	v_pk_mul_f16 v79, v51, s22 op_sel_hi:[0,1]
	s_mov_b32 s22, 0xbbf73b29
	s_mov_b32 s29, 0xbacdbbdd
	v_pk_mul_f16 v66, v43, s30 op_sel_hi:[0,1]
	s_mov_b32 s31, 0xb964bbb2
	v_pk_add_f16 v65, v91, v65
	v_pk_fma_f16 v92, v48, s35, v78 op_sel_hi:[0,1,1] neg_lo:[0,0,1] neg_hi:[0,0,1]
	s_mov_b32 s35, 0x3b76b461
	v_pk_fma_f16 v64, v7, s28, v64 op_sel_hi:[0,1,1]
	v_add_f16_e32 v74, v75, v74
	v_mul_f16_e32 v75, 0xb5c8, v8
	v_fma_f16 v76, v44, s15, v76
	v_pk_mul_f16 v80, v53, s22 op_sel_hi:[0,1]
	s_mov_b32 s30, 0x39e9b461
	v_pk_mul_f16 v90, v45, s31 op_sel_hi:[0,1]
	s_mov_b32 s33, 0x3b29b5c8
	v_pk_add_f16 v65, v92, v65
	v_pk_fma_f16 v92, v50, s35, v79 op_sel_hi:[0,1,1] neg_lo:[0,0,1] neg_hi:[0,0,1]
	s_mov_b32 s35, 0x2de83722
	v_pk_add_f16 v64, v15, v64 op_sel_hi:[0,1]
	v_pk_fma_f16 v66, v42, s29, v66 op_sel_hi:[0,1,1]
	v_add_f16_e32 v74, v76, v74
	v_mul_f16_e32 v76, 0xb964, v43
	v_fma_f16 v77, v46, s14, v77
	v_sub_f16_e32 v56, v56, v75
	s_mov_b32 s31, 0x37223b76
	v_pk_mul_f16 v91, v47, s33 op_sel_hi:[0,1]
	s_mov_b32 s34, 0x31e13b29
	v_pk_add_f16 v65, v92, v65
	v_pk_fma_f16 v92, v52, s35, v80 op_sel_hi:[0,1,1] neg_lo:[0,0,1] neg_hi:[0,0,1]
	v_pk_add_f16 v64, v66, v64
	v_pk_fma_f16 v90, v44, s30, v90 op_sel_hi:[0,1,1]
	v_add_f16_e32 v74, v77, v74
	v_mul_f16_e32 v77, 0xbb29, v45
	v_fma_f16 v78, v48, s9, v78
	v_sub_f16_e32 v57, v57, v76
	v_add_f16_e32 v56, v15, v56
	s_mov_b32 s22, 0xb83635c8
	s_mov_b32 s33, 0xbbdd3722
	v_pk_add_f16 v65, v92, v65
	v_pk_mul_f16 v92, v49, s34 op_sel_hi:[0,1]
	s_mov_b32 s35, 0xbbf73836
	v_pk_add_f16 v64, v90, v64
	s_mov_b32 s30, 0x3a62b964
	v_pk_fma_f16 v91, v46, s31, v91 op_sel_hi:[0,1,1]
	v_add_f16_e32 v74, v78, v74
	v_mul_f16_e32 v78, 0xbbf7, v47
	v_fma_f16 v79, v50, s8, v79
	v_add_f16_e32 v56, v57, v56
	v_sub_f16_e32 v58, v58, v77
	v_pk_mul_f16 v81, v55, s22 op_sel_hi:[0,1]
	s_mov_b32 s34, 0x2de8bacd
	v_pk_mul_f16 v66, v51, s35 op_sel_hi:[0,1]
	s_mov_b32 s29, 0x35c8ba62
	v_pk_add_f16 v64, v91, v64
	v_pk_mul_f16 v91, v55, s30 op_sel_hi:[0,1]
	s_mov_b32 s30, 0xbacd3b76
	v_pk_fma_f16 v92, v48, s33, v92 op_sel_hi:[0,1,1]
	v_add_f16_e32 v74, v79, v74
	v_mul_f16_e32 v79, 0xbbb2, v49
	v_fma_f16 v80, v52, s7, v80
	v_add_f16_e32 v56, v58, v56
	v_sub_f16_e32 v59, v59, v78
	s_mov_b32 s28, 0x3b76b8d2
	v_pk_mul_f16 v90, v53, s29 op_sel_hi:[0,1]
	v_pk_add_f16 v64, v92, v64
	v_pk_fma_f16 v92, v54, s30, v81 op_sel_hi:[0,1,1] neg_lo:[0,0,1] neg_hi:[0,0,1]
	v_pk_fma_f16 v66, v50, s34, v66 op_sel_hi:[0,1,1]
	v_add_f16_e32 v74, v80, v74
	v_mul_f16_e32 v80, 0xba62, v51
	v_fma_f16 v81, v54, s6, v81
	v_add_f16_e32 v56, v59, v56
	v_sub_f16_e32 v60, v60, v79
	s_mov_b32 s19, 0xb836ba62
	s_mov_b32 s29, 0xb8d239e9
	v_pk_add_f16 v64, v66, v64
	v_pk_fma_f16 v66, v52, s28, v90 op_sel_hi:[0,1,1]
	v_add_f16_e32 v74, v81, v74
	v_mul_f16_e32 v81, 0xb836, v53
	v_add_f16_e32 v56, v60, v56
	v_sub_f16_e32 v61, v61, v80
	s_mov_b32 s18, 0xbacdb8d2
	v_pk_mul_f16 v82, v8, s19 op_sel_hi:[0,1]
	s_mov_b32 s22, 0x3b293bb2
	v_pk_add_f16 v66, v66, v64
	v_pk_add_f16 v64, v92, v65
	v_pk_fma_f16 v65, v54, s29, v91 op_sel_hi:[0,1,1]
	v_mul_f16_e32 v75, 0xb1e1, v55
	v_add_f16_e32 v56, v61, v56
	v_sub_f16_e32 v62, v62, v81
	s_mov_b32 s19, 0x3722b461
	v_pk_mul_f16 v83, v43, s22 op_sel_hi:[0,1]
	s_mov_b32 s22, 0xbbf7b5c8
	v_pk_add_f16 v65, v65, v66
	v_pk_fma_f16 v66, v7, s18, v82 op_sel_hi:[0,1,1] neg_lo:[0,0,1] neg_hi:[0,0,1]
	v_add_f16_e32 v56, v62, v56
	v_sub_f16_e32 v63, v63, v75
	s_mov_b32 s24, 0x2de83b76
	v_pk_mul_f16 v84, v45, s22 op_sel_hi:[0,1]
	s_mov_b32 s22, 0x3a62b836
	v_pk_add_f16 v66, v15, v66 op_sel_hi:[0,1]
	v_pk_fma_f16 v90, v42, s19, v83 op_sel_hi:[0,1,1] neg_lo:[0,0,1] neg_hi:[0,0,1]
	v_add_f16_e32 v56, v63, v56
	v_add_f16_e32 v63, v15, v0
	s_mov_b32 s26, 0xb8d2bacd
	v_pk_mul_f16 v85, v47, s22 op_sel_hi:[0,1]
	s_mov_b32 s22, 0xb5c83bf7
	v_pk_add_f16 v66, v90, v66
	v_pk_fma_f16 v90, v44, s24, v84 op_sel_hi:[0,1,1] neg_lo:[0,0,1] neg_hi:[0,0,1]
	v_add_f16_e32 v63, v63, v9
	s_mov_b32 s27, 0x3b762de8
	v_pk_mul_f16 v86, v49, s22 op_sel_hi:[0,1]
	s_mov_b32 s22, 0xb1e1b964
	v_pk_add_f16 v66, v90, v66
	v_pk_fma_f16 v90, v46, s26, v85 op_sel_hi:[0,1,1] neg_lo:[0,0,1] neg_hi:[0,0,1]
	;; [unrolled: 6-line block ×3, first 2 shown]
	v_add_f16_e32 v63, v63, v11
	s_mov_b32 s22, 0x39e9bbdd
	v_pk_mul_f16 v88, v53, s25 op_sel_hi:[0,1]
	v_pk_add_f16 v66, v90, v66
	v_pk_fma_f16 v90, v50, s23, v87 op_sel_hi:[0,1,1] neg_lo:[0,0,1] neg_hi:[0,0,1]
	v_add_f16_e32 v63, v63, v12
	s_mov_b32 s25, 0xb4613722
	v_pk_add_f16 v66, v90, v66
	v_pk_fma_f16 v90, v52, s22, v88 op_sel_hi:[0,1,1] neg_lo:[0,0,1] neg_hi:[0,0,1]
	v_add_f16_e32 v63, v63, v13
	v_mul_f16_e32 v67, 0xb1e1, v8
	v_pk_add_f16 v66, v90, v66
	v_pk_fma_f16 v90, v54, s25, v89 op_sel_hi:[0,1,1] neg_lo:[0,0,1] neg_hi:[0,0,1]
	v_add_f16_e32 v63, v63, v14
	v_mul_f16_e32 v68, 0x35c8, v43
	v_pk_add_f16 v66, v90, v66
	v_fma_f16 v90, v7, s14, -v67
	v_add_f16_e32 v63, v63, v33
	v_mul_f16_e32 v69, 0xb836, v45
	v_add_f16_e32 v90, v15, v90
	v_fma_f16 v91, v42, s6, -v68
	v_add_f16_e32 v63, v63, v34
	v_mul_f16_e32 v70, 0x3964, v47
	v_add_f16_e32 v90, v91, v90
	;; [unrolled: 4-line block ×5, first 2 shown]
	v_fma_f16 v91, v50, s7, -v72
	v_add_f16_e32 v63, v63, v38
	v_add_f16_e32 v90, v91, v90
	v_fma_f16 v91, v52, s8, -v73
	v_add_f16_e32 v63, v63, v39
	v_add_f16_e32 v90, v91, v90
	v_mul_f16_e32 v91, 0x3bf7, v55
	v_add_f16_e32 v63, v63, v40
	v_fma_f16 v92, v54, s17, -v91
	v_add_f16_e32 v63, v63, v41
	v_add_f16_e32 v90, v92, v90
	v_mul_f16_e32 v76, 0xbbdd, v7
	v_pk_mul_f16 v80, v7, s18 op_sel_hi:[0,1]
	v_pack_b32_f16 v63, v63, v56
	v_mad_u32_u24 v92, v3, 34, 0
	s_mov_b32 s6, 0xffff
	v_mul_f16_e32 v57, 0x3b76, v42
	v_pk_mul_f16 v61, v42, s19 op_sel_hi:[0,1]
	ds_write_b128 v92, v[63:66]
	v_bfi_b32 v65, s6, v67, v82
	v_bfi_b32 v66, s6, v76, v80
	v_pk_add_f16 v65, v65, v66
	v_bfi_b32 v66, s6, v68, v83
	v_bfi_b32 v57, s6, v57, v61
	v_mul_f16_e32 v77, 0xbacd, v44
	v_pk_mul_f16 v81, v44, s24 op_sel_hi:[0,1]
	v_pk_add_f16 v65, v15, v65 op_sel_hi:[0,1]
	v_pk_add_f16 v57, v66, v57
	v_pk_add_f16 v57, v57, v65
	v_bfi_b32 v61, s6, v69, v84
	v_bfi_b32 v65, s6, v77, v81
	v_mul_f16_e32 v58, 0x39e9, v46
	v_pk_mul_f16 v62, v46, s26 op_sel_hi:[0,1]
	v_pk_add_f16 v61, v61, v65
	v_pk_add_f16 v57, v61, v57
	v_bfi_b32 v61, s6, v70, v85
	v_bfi_b32 v58, s6, v58, v62
	v_mul_f16_e32 v78, 0xb8d2, v48
	v_pk_mul_f16 v75, v48, s27 op_sel_hi:[0,1]
	;; [unrolled: 6-line block ×5, first 2 shown]
	v_pk_add_f16 v57, v57, v58
	v_pk_add_f16 v56, v57, v56
	v_bfi_b32 v57, s6, v91, v89
	v_bfi_b32 v58, s6, v60, v64
	v_pk_add_f16 v57, v57, v58
	s_mov_b32 s7, 0xb461b8d2
	v_pk_add_f16 v56, v57, v56
	s_mov_b32 s6, 0xbbb2ba62
	v_pk_mul_f16 v57, v7, s7 op_sel_hi:[0,1]
	s_mov_b32 s7, 0xbacdb461
	v_pk_fma_f16 v57, v8, s6, v57 op_sel_hi:[0,1,1]
	s_mov_b32 s6, 0x38363bb2
	v_pk_mul_f16 v58, v42, s7 op_sel_hi:[0,1]
	v_pk_add_f16 v57, v15, v57 op_sel_hi:[0,1]
	v_pk_fma_f16 v58, v43, s6, v58 op_sel_hi:[0,1,1]
	s_mov_b32 s7, 0x39e93b76
	v_pk_add_f16 v57, v58, v57
	s_mov_b32 s6, 0x3964b5c8
	v_pk_mul_f16 v58, v44, s7 op_sel_hi:[0,1]
	v_pk_fma_f16 v58, v45, s6, v58 op_sel_hi:[0,1,1]
	s_mov_b32 s7, 0x3722bacd
	v_pk_add_f16 v57, v58, v57
	s_mov_b32 s6, 0xbb29b836
	v_pk_mul_f16 v58, v46, s7 op_sel_hi:[0,1]
	;; [unrolled: 5-line block ×6, first 2 shown]
	s_mov_b32 s7, 0x37222de8
	v_pk_fma_f16 v58, v55, s6, v58 op_sel_hi:[0,1,1]
	s_mov_b32 s6, 0xbb29bbf7
	v_pk_mul_f16 v7, v7, s7 op_sel_hi:[0,1]
	s_mov_b32 s7, 0xb8d2bbdd
	v_pk_fma_f16 v7, v8, s6, v7 op_sel_hi:[0,1,1]
	s_mov_b32 s6, 0xba62b1e1
	v_pk_mul_f16 v8, v42, s7 op_sel_hi:[0,1]
	v_pk_add_f16 v7, v15, v7 op_sel_hi:[0,1]
	v_pk_fma_f16 v8, v43, s6, v8 op_sel_hi:[0,1,1]
	s_mov_b32 s7, 0xbbddb461
	v_pk_add_f16 v7, v8, v7
	s_mov_b32 s6, 0x31e13bb2
	v_pk_mul_f16 v8, v44, s7 op_sel_hi:[0,1]
	v_pk_fma_f16 v8, v45, s6, v8 op_sel_hi:[0,1,1]
	s_mov_b32 s7, 0xb4613b76
	v_pk_add_f16 v7, v8, v7
	s_mov_b32 s6, 0x3bb235c8
	v_pk_mul_f16 v8, v46, s7 op_sel_hi:[0,1]
	;; [unrolled: 5-line block ×6, first 2 shown]
	v_pk_fma_f16 v8, v55, s6, v8 op_sel_hi:[0,1,1]
	v_pk_add_f16 v57, v58, v57
	v_pk_add_f16 v7, v8, v7
	v_alignbit_b32 v43, v57, v56, 16
	v_pack_b32_f16 v42, v90, v56
	v_alignbit_b32 v45, v74, v7, 16
	v_alignbit_b32 v44, v7, v57, 16
	ds_write_b128 v92, v[42:45] offset:16
	ds_write_b16 v92, v4 offset:32
.LBB0_13:
	s_or_b64 exec, exec, s[2:3]
	v_sub_f16_e32 v64, v0, v41
	s_mov_b32 s2, 0xb964b5c8
	v_add_f16_e32 v63, v17, v32
	v_sub_f16_e32 v62, v9, v40
	s_mov_b32 s17, 0x39e93b76
	v_pk_mul_f16 v9, v64, s2 op_sel_hi:[0,1]
	s_mov_b32 s2, 0xbbf7b964
	v_add_f16_e32 v61, v18, v31
	v_sub_f16_e32 v60, v10, v39
	s_mov_b32 s6, 0x2de839e9
	v_pk_mul_f16 v10, v62, s2 op_sel_hi:[0,1]
	s_mov_b32 s2, 0xba62bb29
	v_pk_fma_f16 v0, v63, s17, v9 op_sel_hi:[0,1,1] neg_lo:[0,0,1] neg_hi:[0,0,1]
	v_add_f16_e32 v59, v19, v30
	v_sub_f16_e32 v58, v11, v38
	s_mov_b32 s7, 0xb8d23722
	v_pk_mul_f16 v11, v60, s2 op_sel_hi:[0,1]
	s_mov_b32 s2, 0xb1e1bbf7
	v_pk_add_f16 v0, v16, v0 op_sel_hi:[0,1]
	v_pk_fma_f16 v7, v61, s6, v10 op_sel_hi:[0,1,1] neg_lo:[0,0,1] neg_hi:[0,0,1]
	v_add_f16_e32 v57, v20, v29
	v_sub_f16_e32 v56, v12, v37
	s_mov_b32 s8, 0xbbdd2de8
	v_pk_mul_f16 v12, v58, s2 op_sel_hi:[0,1]
	s_mov_b32 s2, 0x3836bbb2
	v_pk_add_f16 v0, v7, v0
	v_pk_fma_f16 v7, v59, s7, v11 op_sel_hi:[0,1,1] neg_lo:[0,0,1] neg_hi:[0,0,1]
	v_add_f16_e32 v55, v21, v28
	v_sub_f16_e32 v54, v13, v36
	s_mov_b32 s9, 0xbacdb461
	v_pk_mul_f16 v13, v56, s2 op_sel_hi:[0,1]
	s_mov_b32 s2, 0x3bb2ba62
	v_pk_add_f16 v0, v7, v0
	;; [unrolled: 7-line block ×3, first 2 shown]
	v_pk_fma_f16 v7, v55, s9, v13 op_sel_hi:[0,1,1] neg_lo:[0,0,1] neg_hi:[0,0,1]
	v_add_f16_e32 v51, v23, v26
	s_mov_b32 s15, 0x3722bacd
	v_pk_mul_f16 v15, v52, s2 op_sel_hi:[0,1]
	v_pk_add_f16 v0, v7, v0
	v_pk_fma_f16 v7, v53, s14, v14 op_sel_hi:[0,1,1] neg_lo:[0,0,1] neg_hi:[0,0,1]
	v_pk_add_f16 v0, v7, v0
	v_pk_fma_f16 v7, v51, s15, v15 op_sel_hi:[0,1,1] neg_lo:[0,0,1] neg_hi:[0,0,1]
	v_pk_add_f16 v7, v7, v0
	v_lshl_add_u32 v0, v3, 1, 0
	v_sub_f16_e32 v50, v33, v34
	s_waitcnt lgkmcnt(0)
	; wave barrier
	s_waitcnt lgkmcnt(0)
	ds_read_u16 v40, v0
	ds_read_u16 v41, v0 offset:102
	ds_read_u16 v42, v0 offset:204
	;; [unrolled: 1-line block ×15, first 2 shown]
	s_mov_b32 s2, 0x35c8b1e1
	v_add_f16_e32 v49, v24, v25
	s_mov_b32 s16, 0x3b76bbdd
	v_pk_mul_f16 v48, v50, s2 op_sel_hi:[0,1]
	v_pk_fma_f16 v65, v49, s16, v48 op_sel_hi:[0,1,1] neg_lo:[0,0,1] neg_hi:[0,0,1]
	v_pk_add_f16 v7, v65, v7
	s_waitcnt lgkmcnt(0)
	; wave barrier
	s_waitcnt lgkmcnt(0)
	s_and_saveexec_b64 s[2:3], s[0:1]
	s_cbranch_execz .LBB0_15
; %bb.14:
	v_pack_b32_f16 v65, v63, v63
	v_pk_mul_f16 v63, v63, s17 op_sel_hi:[0,1]
	s_mov_b32 s0, 0x5040100
	v_perm_b32 v66, v16, v16, s0
	v_pack_b32_f16 v67, v61, v61
	v_pk_mul_f16 v61, v61, s6 op_sel_hi:[0,1]
	v_pk_add_f16 v9, v63, v9
	v_pack_b32_f16 v68, v59, v59
	v_pk_mul_f16 v59, v59, s7 op_sel_hi:[0,1]
	v_pk_add_f16 v9, v66, v9
	v_pk_add_f16 v10, v61, v10
	v_pack_b32_f16 v69, v57, v57
	v_pk_mul_f16 v57, v57, s8 op_sel_hi:[0,1]
	v_pk_add_f16 v9, v10, v9
	v_pk_add_f16 v10, v59, v11
	v_pack_b32_f16 v70, v55, v55
	v_pk_mul_f16 v55, v55, s9 op_sel_hi:[0,1]
	v_pk_add_f16 v9, v10, v9
	v_pk_add_f16 v10, v57, v12
	v_pack_b32_f16 v71, v53, v53
	v_pk_mul_f16 v53, v53, s14 op_sel_hi:[0,1]
	v_pk_add_f16 v9, v10, v9
	v_pk_add_f16 v10, v55, v13
	v_pack_b32_f16 v72, v51, v51
	v_pk_mul_f16 v51, v51, s15 op_sel_hi:[0,1]
	v_pk_add_f16 v9, v10, v9
	v_pk_add_f16 v10, v53, v14
	v_pack_b32_f16 v64, v64, v64
	v_pack_b32_f16 v73, v49, v49
	v_pk_mul_f16 v49, v49, s16 op_sel_hi:[0,1]
	v_pk_add_f16 v9, v10, v9
	v_pk_add_f16 v10, v51, v15
	s_mov_b32 s1, 0xbbf7bb29
	v_pack_b32_f16 v62, v62, v62
	v_pk_add_f16 v9, v10, v9
	v_pk_add_f16 v10, v49, v48
	s_mov_b32 s0, 0x2de83722
	v_pk_mul_f16 v11, v64, s1
	s_mov_b32 s6, 0xb1e1ba62
	v_pk_add_f16 v9, v10, v9
	v_pk_fma_f16 v10, v65, s0, v11
	s_mov_b32 s1, 0xbbddb8d2
	v_pk_mul_f16 v12, v62, s6
	v_pack_b32_f16 v60, v60, v60
	v_pk_add_f16 v10, v66, v10
	v_pk_fma_f16 v13, v67, s1, v12
	s_mov_b32 s7, 0x3bb231e1
	v_pk_add_f16 v10, v13, v10
	s_mov_b32 s6, 0xb461bbdd
	v_pk_mul_f16 v13, v60, s7
	v_pack_b32_f16 v58, v58, v58
	v_pk_fma_f16 v14, v68, s6, v13
	s_mov_b32 s8, 0x35c83bb2
	v_pk_add_f16 v10, v14, v10
	s_mov_b32 s7, 0x3b76b461
	v_pk_mul_f16 v14, v58, s8
	v_pack_b32_f16 v56, v56, v56
	v_pk_fma_f16 v15, v69, s7, v14
	s_mov_b32 s9, 0xbb293964
	v_pk_add_f16 v10, v15, v10
	s_mov_b32 s8, 0x372239e9
	v_pk_mul_f16 v15, v56, s9
	v_pk_fma_f16 v11, v65, s0, v11 neg_lo:[0,0,1] neg_hi:[0,0,1]
	v_pack_b32_f16 v54, v54, v54
	v_add_f16_e32 v16, v16, v17
	v_pk_fma_f16 v17, v70, s8, v15
	s_mov_b32 s14, 0xb836b5c8
	v_pk_add_f16 v11, v66, v11
	v_pk_fma_f16 v12, v67, s1, v12 neg_lo:[0,0,1] neg_hi:[0,0,1]
	v_pk_add_f16 v10, v17, v10
	s_mov_b32 s9, 0xbacd3b76
	v_pk_mul_f16 v17, v54, s14
	v_pk_add_f16 v11, v12, v11
	v_pk_fma_f16 v12, v68, s6, v13 neg_lo:[0,0,1] neg_hi:[0,0,1]
	v_pack_b32_f16 v52, v52, v52
	v_add_f16_e32 v16, v16, v18
	v_pk_fma_f16 v18, v71, s9, v17
	s_mov_b32 s15, 0x3a62bbf7
	v_pk_add_f16 v11, v12, v11
	v_pk_fma_f16 v12, v69, s7, v14 neg_lo:[0,0,1] neg_hi:[0,0,1]
	v_pk_add_f16 v10, v18, v10
	s_mov_b32 s14, 0xb8d22de8
	v_pk_mul_f16 v18, v52, s15
	v_pk_add_f16 v11, v12, v11
	v_pk_fma_f16 v12, v70, s8, v15 neg_lo:[0,0,1] neg_hi:[0,0,1]
	v_pack_b32_f16 v50, v50, v50
	v_add_f16_e32 v16, v16, v19
	v_pk_fma_f16 v19, v72, s14, v18
	s_mov_b32 s16, 0x3964b836
	v_pk_add_f16 v11, v12, v11
	v_pk_fma_f16 v12, v71, s9, v17 neg_lo:[0,0,1] neg_hi:[0,0,1]
	v_pk_add_f16 v10, v19, v10
	s_mov_b32 s15, 0x39e9bacd
	v_pk_mul_f16 v19, v50, s16
	v_pk_add_f16 v11, v12, v11
	v_pk_fma_f16 v12, v72, s14, v18 neg_lo:[0,0,1] neg_hi:[0,0,1]
	v_pk_add_f16 v11, v12, v11
	v_pk_fma_f16 v12, v73, s15, v19 neg_lo:[0,0,1] neg_hi:[0,0,1]
	s_mov_b32 s1, 0xba62bbb2
	v_pk_add_f16 v13, v12, v11
	s_mov_b32 s0, 0xb8d2b461
	v_pk_mul_f16 v12, v64, s1
	s_mov_b32 s6, 0x3bb23836
	v_pk_fma_f16 v11, v65, s0, v12
	s_mov_b32 s1, 0xb461bacd
	v_pk_mul_f16 v14, v62, s6
	v_pk_add_f16 v11, v66, v11
	v_pk_fma_f16 v15, v67, s1, v14
	s_mov_b32 s7, 0xb5c83964
	v_pk_add_f16 v11, v15, v11
	s_mov_b32 s6, 0x3b7639e9
	v_pk_mul_f16 v15, v60, s7
	v_pk_fma_f16 v17, v68, s6, v15
	s_mov_b32 s8, 0xb836bb29
	v_pk_add_f16 v11, v17, v11
	s_mov_b32 s7, 0xbacd3722
	v_pk_mul_f16 v17, v58, s8
	;; [unrolled: 5-line block ×3, first 2 shown]
	v_pk_fma_f16 v12, v65, s0, v12 neg_lo:[0,0,1] neg_hi:[0,0,1]
	v_add_f16_e32 v16, v16, v20
	v_pk_fma_f16 v20, v73, s15, v19
	v_pk_fma_f16 v19, v70, s8, v18
	s_mov_b32 s14, 0xb9643bf7
	v_pk_add_f16 v12, v66, v12
	v_pk_fma_f16 v14, v67, s1, v14 neg_lo:[0,0,1] neg_hi:[0,0,1]
	v_pk_add_f16 v11, v19, v11
	s_mov_b32 s9, 0x39e92de8
	v_pk_mul_f16 v19, v54, s14
	v_pk_add_f16 v12, v14, v12
	v_pk_fma_f16 v14, v68, s6, v15 neg_lo:[0,0,1] neg_hi:[0,0,1]
	v_pk_add_f16 v10, v20, v10
	v_pk_fma_f16 v20, v71, s9, v19
	s_mov_b32 s15, 0xb1e1b5c8
	v_pk_add_f16 v12, v14, v12
	v_pk_fma_f16 v14, v69, s7, v17 neg_lo:[0,0,1] neg_hi:[0,0,1]
	v_pk_add_f16 v11, v20, v11
	s_mov_b32 s14, 0xbbdd3b76
	v_pk_mul_f16 v20, v52, s15
	v_pk_add_f16 v12, v14, v12
	v_pk_fma_f16 v14, v70, s8, v18 neg_lo:[0,0,1] neg_hi:[0,0,1]
	v_add_f16_e32 v16, v16, v21
	v_pk_fma_f16 v21, v72, s14, v20
	s_mov_b32 s16, 0x3b29ba62
	v_pk_add_f16 v12, v14, v12
	v_pk_fma_f16 v14, v71, s9, v19 neg_lo:[0,0,1] neg_hi:[0,0,1]
	v_pk_add_f16 v11, v21, v11
	s_mov_b32 s15, 0x3722b8d2
	v_pk_mul_f16 v21, v50, s16
	v_pk_add_f16 v12, v14, v12
	v_pk_fma_f16 v14, v72, s14, v20 neg_lo:[0,0,1] neg_hi:[0,0,1]
	s_mov_b32 s1, 0xb1e1b836
	v_pk_add_f16 v12, v14, v12
	v_pk_fma_f16 v14, v73, s15, v21 neg_lo:[0,0,1] neg_hi:[0,0,1]
	s_mov_b32 s0, 0xbbddbacd
	v_pk_mul_f16 v15, v64, s1
	s_mov_b32 s6, 0x35c83b29
	v_pk_add_f16 v14, v14, v12
	v_pk_fma_f16 v12, v65, s0, v15
	s_mov_b32 s1, 0x3b763722
	v_pk_mul_f16 v17, v62, s6
	v_pk_add_f16 v12, v66, v12
	v_pk_fma_f16 v18, v67, s1, v17
	s_mov_b32 s7, 0xb836bbf7
	v_pk_add_f16 v12, v18, v12
	s_mov_b32 s6, 0xbacd2de8
	v_pk_mul_f16 v18, v60, s7
	v_pk_fma_f16 v19, v68, s6, v18
	s_mov_b32 s8, 0x39643a62
	v_add_f16_e32 v16, v16, v22
	v_pk_add_f16 v12, v19, v12
	s_mov_b32 s7, 0x39e9b8d2
	v_pk_mul_f16 v19, v58, s8
	v_add_f16_e32 v16, v16, v23
	v_pk_fma_f16 v20, v69, s7, v19
	s_mov_b32 s9, 0xba62b5c8
	v_add_f16_e32 v16, v16, v24
	v_pk_add_f16 v12, v20, v12
	s_mov_b32 s8, 0xb8d23b76
	v_pk_mul_f16 v20, v56, s9
	v_pk_fma_f16 v15, v65, s0, v15 neg_lo:[0,0,1] neg_hi:[0,0,1]
	v_add_f16_e32 v16, v16, v25
	v_pk_fma_f16 v22, v73, s15, v21
	v_pk_fma_f16 v21, v70, s8, v20
	s_mov_b32 s14, 0x3b29b1e1
	v_pk_add_f16 v15, v66, v15
	v_pk_fma_f16 v17, v67, s1, v17 neg_lo:[0,0,1] neg_hi:[0,0,1]
	v_add_f16_e32 v16, v16, v26
	v_pk_add_f16 v12, v21, v12
	s_mov_b32 s9, 0x3722bbdd
	v_pk_mul_f16 v21, v54, s14
	v_pk_add_f16 v15, v17, v15
	v_pk_fma_f16 v17, v68, s6, v18 neg_lo:[0,0,1] neg_hi:[0,0,1]
	v_add_f16_e32 v16, v16, v27
	v_pk_add_f16 v11, v22, v11
	v_pk_fma_f16 v22, v71, s9, v21
	s_mov_b32 s15, 0xbbb23964
	v_pk_add_f16 v15, v17, v15
	v_pk_fma_f16 v17, v69, s7, v19 neg_lo:[0,0,1] neg_hi:[0,0,1]
	v_add_f16_e32 v16, v16, v28
	v_pk_add_f16 v12, v22, v12
	s_mov_b32 s14, 0xb46139e9
	v_pk_mul_f16 v22, v52, s15
	v_pk_add_f16 v15, v17, v15
	v_pk_fma_f16 v17, v70, s8, v20 neg_lo:[0,0,1] neg_hi:[0,0,1]
	v_add_f16_e32 v16, v16, v29
	v_pk_fma_f16 v23, v72, s14, v22
	s_mov_b32 s16, 0x3bf7bbb2
	v_pk_add_f16 v15, v17, v15
	v_pk_fma_f16 v17, v71, s9, v21 neg_lo:[0,0,1] neg_hi:[0,0,1]
	v_add_f16_e32 v16, v16, v30
	v_pk_add_f16 v12, v23, v12
	s_mov_b32 s15, 0x2de8b461
	v_pk_mul_f16 v23, v50, s16
	v_pk_add_f16 v15, v17, v15
	v_pk_fma_f16 v17, v72, s14, v22 neg_lo:[0,0,1] neg_hi:[0,0,1]
	v_add_f16_e32 v16, v16, v31
	v_pk_fma_f16 v24, v73, s15, v23
	v_pk_add_f16 v15, v17, v15
	v_pk_fma_f16 v17, v73, s15, v23 neg_lo:[0,0,1] neg_hi:[0,0,1]
	v_add_f16_e32 v16, v16, v32
	v_pk_add_f16 v12, v24, v12
	v_pk_add_f16 v15, v17, v15
	v_lshl_add_u32 v17, v3, 5, v0
	ds_write_b16 v17, v16
	ds_write_b128 v17, v[9:12] offset:2
	v_alignbit_b32 v9, v15, v15, 16
	v_alignbit_b32 v10, v14, v14, 16
	;; [unrolled: 1-line block ×4, first 2 shown]
	ds_write_b128 v17, v[9:12] offset:18
.LBB0_15:
	s_or_b64 exec, exec, s[2:3]
	v_add_u32_e32 v15, 51, v3
	s_movk_i32 s0, 0xf1
	v_mul_lo_u16_sdwa v20, v15, s0 dst_sel:DWORD dst_unused:UNUSED_PAD src0_sel:BYTE_0 src1_sel:DWORD
	v_lshrrev_b16_e32 v20, 12, v20
	v_add_u32_e32 v14, 0x66, v3
	v_mul_lo_u16_e32 v21, 17, v20
	v_sub_u16_e32 v23, v15, v21
	v_mul_lo_u16_sdwa v21, v14, s0 dst_sel:DWORD dst_unused:UNUSED_PAD src0_sel:BYTE_0 src1_sel:DWORD
	v_lshrrev_b16_e32 v28, 12, v21
	v_add_u32_e32 v13, 0x99, v3
	v_mul_lo_u16_e32 v21, 17, v28
	v_sub_u16_e32 v29, v14, v21
	v_mul_lo_u16_sdwa v21, v13, s0 dst_sel:DWORD dst_unused:UNUSED_PAD src0_sel:BYTE_0 src1_sel:DWORD
	v_lshrrev_b16_e32 v31, 12, v21
	v_add_u32_e32 v12, 0xcc, v3
	v_mul_lo_u16_e32 v21, 17, v31
	v_sub_u16_e32 v32, v13, v21
	v_mul_lo_u16_sdwa v21, v12, s0 dst_sel:DWORD dst_unused:UNUSED_PAD src0_sel:BYTE_0 src1_sel:DWORD
	v_lshrrev_b16_e32 v68, 12, v21
	v_add_u32_e32 v11, 0xff, v3
	v_mul_lo_u16_sdwa v16, v3, s0 dst_sel:DWORD dst_unused:UNUSED_PAD src0_sel:BYTE_0 src1_sel:DWORD
	v_mul_lo_u16_e32 v21, 17, v68
	s_mov_b32 s0, 0xf0f1
	v_lshrrev_b16_e32 v17, 12, v16
	v_sub_u16_e32 v69, v12, v21
	v_mul_u32_u24_sdwa v21, v11, s0 dst_sel:DWORD dst_unused:UNUSED_PAD src0_sel:WORD_0 src1_sel:DWORD
	v_mul_lo_u16_e32 v16, 17, v17
	v_lshrrev_b32_e32 v70, 20, v21
	v_add_u32_e32 v10, 0x132, v3
	v_sub_u16_e32 v18, v3, v16
	v_mov_b32_e32 v16, 2
	v_mul_lo_u16_e32 v21, 17, v70
	v_add_u32_e32 v9, 0x165, v3
	v_lshlrev_b32_sdwa v19, v16, v18 dst_sel:DWORD dst_unused:UNUSED_PAD src0_sel:DWORD src1_sel:BYTE_0
	v_lshlrev_b32_sdwa v27, v16, v23 dst_sel:DWORD dst_unused:UNUSED_PAD src0_sel:DWORD src1_sel:BYTE_0
	v_sub_u16_e32 v71, v11, v21
	v_mul_u32_u24_sdwa v21, v10, s0 dst_sel:DWORD dst_unused:UNUSED_PAD src0_sel:WORD_0 src1_sel:DWORD
	s_load_dwordx2 s[4:5], s[4:5], 0x0
	s_waitcnt lgkmcnt(0)
	; wave barrier
	s_waitcnt lgkmcnt(0)
	v_lshlrev_b32_sdwa v30, v16, v29 dst_sel:DWORD dst_unused:UNUSED_PAD src0_sel:DWORD src1_sel:BYTE_0
	v_lshlrev_b32_sdwa v49, v16, v32 dst_sel:DWORD dst_unused:UNUSED_PAD src0_sel:DWORD src1_sel:BYTE_0
	;; [unrolled: 1-line block ×3, first 2 shown]
	v_lshlrev_b32_e32 v50, 2, v71
	v_lshrrev_b32_e32 v72, 20, v21
	global_load_dword v48, v19, s[12:13]
	global_load_dword v26, v27, s[12:13]
	global_load_dword v25, v30, s[12:13]
	global_load_dword v24, v49, s[12:13]
	global_load_dword v22, v16, s[12:13]
	global_load_dword v21, v50, s[12:13]
	v_mul_u32_u24_sdwa v27, v9, s0 dst_sel:DWORD dst_unused:UNUSED_PAD src0_sel:WORD_0 src1_sel:DWORD
	v_mul_lo_u16_e32 v51, 17, v72
	v_lshrrev_b32_e32 v27, 20, v27
	v_sub_u16_e32 v19, v10, v51
	v_mul_lo_u16_e32 v30, 17, v27
	v_lshlrev_b32_e32 v16, 2, v19
	v_sub_u16_e32 v30, v9, v30
	global_load_dword v57, v16, s[12:13]
	v_lshlrev_b32_e32 v16, 2, v30
	global_load_dword v58, v16, s[12:13]
	ds_read_u16 v56, v0
	ds_read_u16 v55, v0 offset:102
	ds_read_u16 v54, v0 offset:204
	;; [unrolled: 1-line block ×15, first 2 shown]
	v_mov_b32_e32 v82, 1
	v_mul_u32_u24_e32 v17, 0x44, v17
	v_lshlrev_b32_sdwa v18, v82, v18 dst_sel:DWORD dst_unused:UNUSED_PAD src0_sel:DWORD src1_sel:BYTE_0
	s_waitcnt lgkmcnt(0)
	; wave barrier
	s_waitcnt lgkmcnt(0)
	v_cmp_gt_u32_e64 s[0:1], 17, v3
	s_waitcnt vmcnt(7)
	v_mul_f16_sdwa v16, v66, v48 dst_sel:DWORD dst_unused:UNUSED_PAD src0_sel:DWORD src1_sel:WORD_1
	s_waitcnt vmcnt(6)
	v_mul_f16_sdwa v67, v65, v26 dst_sel:DWORD dst_unused:UNUSED_PAD src0_sel:DWORD src1_sel:WORD_1
	v_fma_f16 v16, v39, v48, -v16
	v_fma_f16 v67, v38, v26, -v67
	v_sub_f16_e32 v79, v40, v16
	s_waitcnt vmcnt(2)
	v_mul_f16_sdwa v76, v61, v21 dst_sel:DWORD dst_unused:UNUSED_PAD src0_sel:DWORD src1_sel:WORD_1
	v_fma_f16 v76, v34, v21, -v76
	v_sub_f16_e32 v76, v45, v76
	v_fma_f16 v80, v45, 2.0, -v76
	v_add3_u32 v45, 0, v17, v18
	v_mul_u32_u24_e32 v17, 0x44, v20
	v_lshlrev_b32_sdwa v18, v82, v23 dst_sel:DWORD dst_unused:UNUSED_PAD src0_sel:DWORD src1_sel:BYTE_0
	v_sub_f16_e32 v67, v41, v67
	s_waitcnt vmcnt(1)
	v_mul_f16_sdwa v77, v60, v57 dst_sel:DWORD dst_unused:UNUSED_PAD src0_sel:DWORD src1_sel:WORD_1
	v_fma_f16 v77, v33, v57, -v77
	s_waitcnt vmcnt(0)
	v_mul_f16_sdwa v78, v59, v58 dst_sel:DWORD dst_unused:UNUSED_PAD src0_sel:DWORD src1_sel:WORD_1
	v_fma_f16 v78, v8, v58, -v78
	v_sub_f16_e32 v77, v46, v77
	v_fma_f16 v81, v46, 2.0, -v77
	v_sub_f16_e32 v16, v47, v78
	v_add3_u32 v46, 0, v17, v18
	v_mul_u32_u24_e32 v17, 0x44, v28
	v_lshlrev_b32_sdwa v18, v82, v29 dst_sel:DWORD dst_unused:UNUSED_PAD src0_sel:DWORD src1_sel:BYTE_0
	v_fma_f16 v40, v40, 2.0, -v79
	v_fma_f16 v41, v41, 2.0, -v67
	;; [unrolled: 1-line block ×3, first 2 shown]
	v_add3_u32 v47, 0, v17, v18
	v_mul_u32_u24_e32 v17, 0x44, v31
	v_lshlrev_b32_sdwa v18, v82, v32 dst_sel:DWORD dst_unused:UNUSED_PAD src0_sel:DWORD src1_sel:BYTE_0
	ds_write_b16 v45, v40
	ds_write_b16 v45, v79 offset:34
	ds_write_b16 v46, v41
	ds_write_b16 v46, v67 offset:34
	v_add3_u32 v67, 0, v17, v18
	v_mul_u32_u24_e32 v17, 0x44, v68
	v_lshlrev_b32_sdwa v18, v82, v69 dst_sel:DWORD dst_unused:UNUSED_PAD src0_sel:DWORD src1_sel:BYTE_0
	v_mul_f16_sdwa v73, v64, v25 dst_sel:DWORD dst_unused:UNUSED_PAD src0_sel:DWORD src1_sel:WORD_1
	v_mul_f16_sdwa v74, v63, v24 dst_sel:DWORD dst_unused:UNUSED_PAD src0_sel:DWORD src1_sel:WORD_1
	;; [unrolled: 1-line block ×3, first 2 shown]
	v_add3_u32 v68, 0, v17, v18
	v_mul_u32_u24_e32 v17, 0x44, v70
	v_lshlrev_b32_e32 v18, 1, v71
	v_fma_f16 v73, v37, v25, -v73
	v_fma_f16 v74, v36, v24, -v74
	;; [unrolled: 1-line block ×3, first 2 shown]
	v_add3_u32 v69, 0, v17, v18
	v_mul_u32_u24_e32 v17, 0x44, v72
	v_lshlrev_b32_e32 v18, 1, v19
	v_sub_f16_e32 v73, v42, v73
	v_sub_f16_e32 v74, v43, v74
	;; [unrolled: 1-line block ×3, first 2 shown]
	v_add3_u32 v70, 0, v17, v18
	v_mul_u32_u24_e32 v17, 0x44, v27
	v_lshlrev_b32_e32 v18, 1, v30
	v_fma_f16 v42, v42, 2.0, -v73
	v_fma_f16 v43, v43, 2.0, -v74
	;; [unrolled: 1-line block ×3, first 2 shown]
	v_add3_u32 v71, 0, v17, v18
	ds_write_b16 v47, v42
	ds_write_b16 v47, v73 offset:34
	ds_write_b16 v67, v43
	ds_write_b16 v67, v74 offset:34
	;; [unrolled: 2-line block ×6, first 2 shown]
	s_waitcnt lgkmcnt(0)
	; wave barrier
	s_waitcnt lgkmcnt(0)
	ds_read_u16 v28, v0 offset:646
	ds_read_u16 v27, v0 offset:748
	ds_read_u16 v23, v0
	ds_read_u16 v20, v0 offset:102
	ds_read_u16 v19, v0 offset:204
	;; [unrolled: 1-line block ×12, first 2 shown]
                                        ; implicit-def: $vgpr31
	s_and_saveexec_b64 s[2:3], s[0:1]
	s_cbranch_execz .LBB0_17
; %bb.16:
	ds_read_u16 v16, v0 offset:510
	ds_read_u16 v4, v0 offset:1054
	;; [unrolled: 1-line block ×3, first 2 shown]
.LBB0_17:
	s_or_b64 exec, exec, s[2:3]
	v_mul_f16_sdwa v39, v39, v48 dst_sel:DWORD dst_unused:UNUSED_PAD src0_sel:DWORD src1_sel:WORD_1
	v_mul_f16_sdwa v38, v38, v26 dst_sel:DWORD dst_unused:UNUSED_PAD src0_sel:DWORD src1_sel:WORD_1
	;; [unrolled: 1-line block ×5, first 2 shown]
	v_fma_f16 v39, v66, v48, v39
	v_fma_f16 v26, v65, v26, v38
	v_mul_f16_sdwa v37, v37, v25 dst_sel:DWORD dst_unused:UNUSED_PAD src0_sel:DWORD src1_sel:WORD_1
	v_fma_f16 v24, v63, v24, v36
	v_fma_f16 v22, v62, v22, v35
	;; [unrolled: 1-line block ×3, first 2 shown]
	v_mul_f16_sdwa v33, v33, v57 dst_sel:DWORD dst_unused:UNUSED_PAD src0_sel:DWORD src1_sel:WORD_1
	v_mul_f16_sdwa v8, v8, v58 dst_sel:DWORD dst_unused:UNUSED_PAD src0_sel:DWORD src1_sel:WORD_1
	v_fma_f16 v25, v64, v25, v37
	v_fma_f16 v33, v60, v57, v33
	;; [unrolled: 1-line block ×3, first 2 shown]
	v_sub_f16_e32 v34, v56, v39
	v_sub_f16_e32 v26, v55, v26
	;; [unrolled: 1-line block ×5, first 2 shown]
	v_fma_f16 v35, v56, 2.0, -v34
	v_fma_f16 v36, v55, 2.0, -v26
	v_sub_f16_e32 v25, v54, v25
	v_fma_f16 v38, v53, 2.0, -v24
	v_fma_f16 v39, v52, 2.0, -v22
	;; [unrolled: 1-line block ×3, first 2 shown]
	v_sub_f16_e32 v33, v50, v33
	v_sub_f16_e32 v8, v49, v8
	v_fma_f16 v37, v54, 2.0, -v25
	v_fma_f16 v50, v50, 2.0, -v33
	;; [unrolled: 1-line block ×3, first 2 shown]
	s_waitcnt lgkmcnt(0)
	; wave barrier
	s_waitcnt lgkmcnt(0)
	ds_write_b16 v45, v35
	ds_write_b16 v45, v34 offset:34
	ds_write_b16 v46, v36
	ds_write_b16 v46, v26 offset:34
	;; [unrolled: 2-line block ×8, first 2 shown]
	s_waitcnt lgkmcnt(0)
	; wave barrier
	s_waitcnt lgkmcnt(0)
	ds_read_u16 v34, v0 offset:646
	ds_read_u16 v33, v0 offset:748
	ds_read_u16 v26, v0
	ds_read_u16 v25, v0 offset:102
	ds_read_u16 v24, v0 offset:204
	;; [unrolled: 1-line block ×12, first 2 shown]
                                        ; implicit-def: $vgpr37
	s_and_saveexec_b64 s[2:3], s[0:1]
	s_cbranch_execz .LBB0_19
; %bb.18:
	ds_read_u16 v8, v0 offset:510
	ds_read_u16 v7, v0 offset:1054
	;; [unrolled: 1-line block ×3, first 2 shown]
.LBB0_19:
	s_or_b64 exec, exec, s[2:3]
	v_subrev_u32_e32 v49, 34, v3
	v_cmp_gt_u32_e64 s[2:3], 34, v3
	v_cndmask_b32_e64 v49, v49, v3, s[2:3]
	v_lshlrev_b32_e32 v54, 1, v49
	v_mov_b32_e32 v55, 0
	v_lshlrev_b64 v[49:50], 2, v[54:55]
	v_mov_b32_e32 v51, s13
	v_add_co_u32_e64 v49, s[2:3], s12, v49
	v_addc_co_u32_e64 v50, s[2:3], v51, v50, s[2:3]
	s_movk_i32 s2, 0xf1
	v_mul_lo_u16_sdwa v51, v15, s2 dst_sel:DWORD dst_unused:UNUSED_PAD src0_sel:BYTE_0 src1_sel:DWORD
	v_lshrrev_b16_e32 v65, 13, v51
	v_mul_lo_u16_e32 v51, 34, v65
	v_sub_u16_e32 v52, v15, v51
	v_mul_lo_u16_sdwa v51, v14, s2 dst_sel:DWORD dst_unused:UNUSED_PAD src0_sel:BYTE_0 src1_sel:DWORD
	v_mul_lo_u16_sdwa v58, v13, s2 dst_sel:DWORD dst_unused:UNUSED_PAD src0_sel:BYTE_0 src1_sel:DWORD
	;; [unrolled: 1-line block ×3, first 2 shown]
	v_lshrrev_b16_e32 v66, 13, v51
	v_lshrrev_b16_e32 v67, 13, v58
	v_lshrrev_b16_e32 v69, 13, v61
	v_mul_lo_u16_e32 v56, 34, v66
	v_mul_lo_u16_e32 v58, 34, v67
	;; [unrolled: 1-line block ×3, first 2 shown]
	v_mov_b32_e32 v53, 3
	global_load_dwordx2 v[50:51], v[49:50], off offset:68
	v_sub_u16_e32 v49, v14, v56
	v_sub_u16_e32 v68, v13, v58
	;; [unrolled: 1-line block ×3, first 2 shown]
	v_lshlrev_b32_sdwa v55, v53, v52 dst_sel:DWORD dst_unused:UNUSED_PAD src0_sel:DWORD src1_sel:BYTE_0
	v_lshlrev_b32_sdwa v57, v53, v49 dst_sel:DWORD dst_unused:UNUSED_PAD src0_sel:DWORD src1_sel:BYTE_0
	v_lshlrev_b32_sdwa v59, v53, v68 dst_sel:DWORD dst_unused:UNUSED_PAD src0_sel:DWORD src1_sel:BYTE_0
	v_lshlrev_b32_sdwa v53, v53, v70 dst_sel:DWORD dst_unused:UNUSED_PAD src0_sel:DWORD src1_sel:BYTE_0
	s_mov_b32 s2, 0xf0f1
	global_load_dwordx2 v[55:56], v55, s[12:13] offset:68
	s_movk_i32 s6, 0x3aee
	global_load_dwordx2 v[59:60], v59, s[12:13] offset:68
	s_mov_b32 s7, 0xbaee
	global_load_dwordx2 v[61:62], v53, s[12:13] offset:68
	v_mul_u32_u24_sdwa v53, v11, s2 dst_sel:DWORD dst_unused:UNUSED_PAD src0_sel:WORD_0 src1_sel:DWORD
	v_lshrrev_b32_e32 v53, 21, v53
	v_mul_lo_u16_e32 v53, 34, v53
	global_load_dwordx2 v[57:58], v57, s[12:13] offset:68
	v_sub_u16_e32 v71, v11, v53
	v_lshlrev_b32_e32 v53, 3, v71
	global_load_dwordx2 v[63:64], v53, s[12:13] offset:68
	v_mov_b32_e32 v53, 1
	v_lshlrev_b32_sdwa v72, v53, v52 dst_sel:DWORD dst_unused:UNUSED_PAD src0_sel:DWORD src1_sel:BYTE_0
	v_lshlrev_b32_sdwa v73, v53, v49 dst_sel:DWORD dst_unused:UNUSED_PAD src0_sel:DWORD src1_sel:BYTE_0
	;; [unrolled: 1-line block ×4, first 2 shown]
	v_cmp_lt_u32_e64 s[2:3], 33, v3
	s_waitcnt lgkmcnt(0)
	; wave barrier
	s_waitcnt vmcnt(5) lgkmcnt(0)
	v_mul_f16_sdwa v52, v43, v50 dst_sel:DWORD dst_unused:UNUSED_PAD src0_sel:DWORD src1_sel:WORD_1
	v_mul_f16_sdwa v49, v47, v50 dst_sel:DWORD dst_unused:UNUSED_PAD src0_sel:DWORD src1_sel:WORD_1
	v_fma_f16 v52, v47, v50, v52
	v_mul_f16_sdwa v53, v48, v51 dst_sel:DWORD dst_unused:UNUSED_PAD src0_sel:DWORD src1_sel:WORD_1
	v_fma_f16 v49, v43, v50, -v49
	v_mul_f16_sdwa v74, v44, v51 dst_sel:DWORD dst_unused:UNUSED_PAD src0_sel:DWORD src1_sel:WORD_1
	v_fma_f16 v50, v44, v51, -v53
	v_fma_f16 v53, v48, v51, v74
	s_waitcnt vmcnt(4)
	v_mul_f16_sdwa v77, v46, v56 dst_sel:DWORD dst_unused:UNUSED_PAD src0_sel:DWORD src1_sel:WORD_1
	v_mul_f16_sdwa v78, v42, v56 dst_sel:DWORD dst_unused:UNUSED_PAD src0_sel:DWORD src1_sel:WORD_1
	s_waitcnt vmcnt(3)
	v_mul_f16_sdwa v84, v29, v59 dst_sel:DWORD dst_unused:UNUSED_PAD src0_sel:DWORD src1_sel:WORD_1
	v_mul_f16_sdwa v85, v38, v60 dst_sel:DWORD dst_unused:UNUSED_PAD src0_sel:DWORD src1_sel:WORD_1
	s_waitcnt vmcnt(2)
	v_mul_f16_sdwa v89, v36, v62 dst_sel:DWORD dst_unused:UNUSED_PAD src0_sel:DWORD src1_sel:WORD_1
	v_fma_f16 v47, v42, v56, -v77
	v_mul_f16_sdwa v83, v35, v59 dst_sel:DWORD dst_unused:UNUSED_PAD src0_sel:DWORD src1_sel:WORD_1
	v_mul_f16_sdwa v86, v32, v60 dst_sel:DWORD dst_unused:UNUSED_PAD src0_sel:DWORD src1_sel:WORD_1
	s_waitcnt vmcnt(1)
	v_mul_f16_sdwa v79, v33, v57 dst_sel:DWORD dst_unused:UNUSED_PAD src0_sel:DWORD src1_sel:WORD_1
	v_mul_f16_sdwa v80, v27, v57 dst_sel:DWORD dst_unused:UNUSED_PAD src0_sel:DWORD src1_sel:WORD_1
	;; [unrolled: 1-line block ×3, first 2 shown]
	v_fma_f16 v42, v27, v57, -v79
	v_mul_f16_sdwa v27, v30, v62 dst_sel:DWORD dst_unused:UNUSED_PAD src0_sel:DWORD src1_sel:WORD_1
	v_mul_f16_sdwa v82, v41, v58 dst_sel:DWORD dst_unused:UNUSED_PAD src0_sel:DWORD src1_sel:WORD_1
	v_fma_f16 v43, v41, v58, -v81
	v_fma_f16 v41, v35, v59, v84
	v_fma_f16 v35, v32, v60, -v85
	v_fma_f16 v32, v30, v62, -v89
	v_fma_f16 v30, v36, v62, v27
	s_waitcnt vmcnt(0)
	v_mul_f16_sdwa v27, v7, v63 dst_sel:DWORD dst_unused:UNUSED_PAD src0_sel:DWORD src1_sel:WORD_1
	v_mul_f16_sdwa v75, v34, v55 dst_sel:DWORD dst_unused:UNUSED_PAD src0_sel:DWORD src1_sel:WORD_1
	v_fma_f16 v27, v4, v63, -v27
	v_mul_f16_sdwa v4, v4, v63 dst_sel:DWORD dst_unused:UNUSED_PAD src0_sel:DWORD src1_sel:WORD_1
	v_mul_f16_sdwa v76, v28, v55 dst_sel:DWORD dst_unused:UNUSED_PAD src0_sel:DWORD src1_sel:WORD_1
	v_fma_f16 v44, v28, v55, -v75
	v_fma_f16 v51, v46, v56, v78
	v_fma_f16 v46, v33, v57, v80
	v_fma_f16 v33, v29, v59, -v83
	v_fma_f16 v4, v7, v63, v4
	v_mul_f16_sdwa v7, v37, v64 dst_sel:DWORD dst_unused:UNUSED_PAD src0_sel:DWORD src1_sel:WORD_1
	v_mul_f16_sdwa v29, v31, v64 dst_sel:DWORD dst_unused:UNUSED_PAD src0_sel:DWORD src1_sel:WORD_1
	v_add_f16_e32 v36, v49, v50
	v_mul_f16_sdwa v88, v40, v61 dst_sel:DWORD dst_unused:UNUSED_PAD src0_sel:DWORD src1_sel:WORD_1
	v_fma_f16 v48, v34, v55, v76
	v_fma_f16 v7, v31, v64, -v7
	v_fma_f16 v29, v37, v64, v29
	v_add_f16_e32 v31, v23, v49
	v_fma_f16 v23, v36, -0.5, v23
	v_sub_f16_e32 v36, v52, v53
	v_add_f16_e32 v37, v44, v47
	v_mul_f16_sdwa v87, v39, v61 dst_sel:DWORD dst_unused:UNUSED_PAD src0_sel:DWORD src1_sel:WORD_1
	v_fma_f16 v34, v39, v61, v88
	v_fma_f16 v39, v36, s6, v23
	;; [unrolled: 1-line block ×3, first 2 shown]
	v_add_f16_e32 v36, v20, v44
	v_fma_f16 v20, v37, -0.5, v20
	v_sub_f16_e32 v37, v48, v51
	v_fma_f16 v28, v40, v61, -v87
	v_fma_f16 v40, v37, s6, v20
	v_fma_f16 v20, v37, s7, v20
	v_add_f16_e32 v37, v19, v42
	v_fma_f16 v45, v45, v58, v82
	v_add_f16_e32 v55, v37, v43
	v_add_f16_e32 v37, v42, v43
	v_fma_f16 v19, v37, -0.5, v19
	v_sub_f16_e32 v37, v46, v45
	v_fma_f16 v56, v37, s6, v19
	v_fma_f16 v19, v37, s7, v19
	v_add_f16_e32 v37, v18, v33
	v_fma_f16 v38, v38, v60, v86
	v_add_f16_e32 v57, v37, v35
	v_add_f16_e32 v37, v33, v35
	v_fma_f16 v18, v37, -0.5, v18
	v_sub_f16_e32 v37, v41, v38
	v_fma_f16 v58, v37, s6, v18
	v_fma_f16 v18, v37, s7, v18
	v_add_f16_e32 v37, v17, v28
	v_add_f16_e32 v59, v37, v32
	;; [unrolled: 1-line block ×3, first 2 shown]
	v_fma_f16 v17, v37, -0.5, v17
	v_sub_f16_e32 v37, v34, v30
	v_fma_f16 v60, v37, s6, v17
	v_fma_f16 v17, v37, s7, v17
	v_mov_b32_e32 v37, 0xcc
	v_cndmask_b32_e64 v37, 0, v37, s[2:3]
	v_add_f16_e32 v31, v31, v50
	v_add3_u32 v37, 0, v37, v54
	ds_write_b16 v37, v31
	ds_write_b16 v37, v39 offset:68
	ds_write_b16 v37, v23 offset:136
	v_mul_u32_u24_e32 v23, 0xcc, v65
	v_add_f16_e32 v36, v36, v47
	v_add3_u32 v39, 0, v23, v72
	ds_write_b16 v39, v36
	ds_write_b16 v39, v40 offset:68
	ds_write_b16 v39, v20 offset:136
	v_mul_u32_u24_e32 v20, 0xcc, v66
	v_add3_u32 v40, 0, v20, v73
	ds_write_b16 v40, v55
	ds_write_b16 v40, v56 offset:68
	ds_write_b16 v40, v19 offset:136
	v_mul_u32_u24_e32 v19, 0xcc, v67
	;; [unrolled: 5-line block ×3, first 2 shown]
	v_add3_u32 v55, 0, v18, v70
	v_lshl_add_u32 v36, v71, 1, 0
	ds_write_b16 v55, v59
	ds_write_b16 v55, v60 offset:68
	ds_write_b16 v55, v17 offset:136
	s_and_saveexec_b64 s[2:3], s[0:1]
	s_cbranch_execz .LBB0_21
; %bb.20:
	v_add_f16_e32 v17, v27, v7
	v_fma_f16 v17, v17, -0.5, v16
	v_add_f16_e32 v16, v16, v27
	v_sub_f16_e32 v18, v4, v29
	v_add_f16_e32 v16, v16, v7
	v_fma_f16 v19, v18, s7, v17
	v_fma_f16 v17, v18, s6, v17
	ds_write_b16 v36, v16 offset:1428
	ds_write_b16 v36, v17 offset:1496
	ds_write_b16 v36, v19 offset:1564
.LBB0_21:
	s_or_b64 exec, exec, s[2:3]
	v_add_f16_e32 v16, v26, v52
	v_add_f16_e32 v56, v16, v53
	v_add_f16_e32 v16, v52, v53
	v_fma_f16 v16, v16, -0.5, v26
	v_sub_f16_e32 v17, v49, v50
	v_fma_f16 v49, v17, s7, v16
	v_fma_f16 v50, v17, s6, v16
	v_add_f16_e32 v16, v25, v48
	v_add_f16_e32 v52, v16, v51
	v_add_f16_e32 v16, v48, v51
	v_fma_f16 v16, v16, -0.5, v25
	v_sub_f16_e32 v17, v44, v47
	v_fma_f16 v44, v17, s7, v16
	v_fma_f16 v47, v17, s6, v16
	;; [unrolled: 7-line block ×5, first 2 shown]
	s_waitcnt lgkmcnt(0)
	; wave barrier
	s_waitcnt lgkmcnt(0)
	ds_read_u16 v23, v0
	ds_read_u16 v22, v0 offset:102
	ds_read_u16 v21, v0 offset:204
	ds_read_u16 v20, v0 offset:306
	ds_read_u16 v19, v0 offset:408
	ds_read_u16 v18, v0 offset:510
	ds_read_u16 v17, v0 offset:612
	ds_read_u16 v16, v0 offset:714
	ds_read_u16 v33, v0 offset:816
	ds_read_u16 v32, v0 offset:918
	ds_read_u16 v31, v0 offset:1020
	ds_read_u16 v30, v0 offset:1122
	ds_read_u16 v28, v0 offset:1224
	ds_read_u16 v26, v0 offset:1326
	ds_read_u16 v25, v0 offset:1428
	ds_read_u16 v24, v0 offset:1530
	s_waitcnt lgkmcnt(0)
	; wave barrier
	s_waitcnt lgkmcnt(0)
	ds_write_b16 v37, v56
	ds_write_b16 v37, v49 offset:68
	ds_write_b16 v37, v50 offset:136
	ds_write_b16 v39, v52
	ds_write_b16 v39, v44 offset:68
	ds_write_b16 v39, v47 offset:136
	;; [unrolled: 3-line block ×5, first 2 shown]
	s_and_saveexec_b64 s[2:3], s[0:1]
	s_cbranch_execz .LBB0_23
; %bb.22:
	v_add_f16_e32 v34, v8, v4
	v_add_f16_e32 v4, v4, v29
	v_fma_f16 v4, v4, -0.5, v8
	v_sub_f16_e32 v7, v27, v7
	s_mov_b32 s0, 0xbaee
	v_add_f16_e32 v34, v34, v29
	v_fma_f16 v8, v7, s0, v4
	s_movk_i32 s0, 0x3aee
	v_fma_f16 v4, v7, s0, v4
	ds_write_b16 v36, v34 offset:1428
	ds_write_b16 v36, v8 offset:1496
	;; [unrolled: 1-line block ×3, first 2 shown]
.LBB0_23:
	s_or_b64 exec, exec, s[2:3]
	v_mov_b32_e32 v4, 0
	v_lshlrev_b64 v[7:8], 2, v[3:4]
	v_mov_b32_e32 v4, s13
	v_add_co_u32_e64 v7, s[0:1], s12, v7
	v_addc_co_u32_e64 v8, s[0:1], v4, v8, s[0:1]
	s_movk_i32 s0, 0xa1
	v_mul_lo_u16_sdwa v4, v12, s0 dst_sel:DWORD dst_unused:UNUSED_PAD src0_sel:BYTE_0 src1_sel:DWORD
	v_lshrrev_b16_e32 v4, 14, v4
	s_mov_b32 s0, 0xa0a1
	v_mul_lo_u16_e32 v4, 0x66, v4
	v_mul_u32_u24_sdwa v35, v11, s0 dst_sel:DWORD dst_unused:UNUSED_PAD src0_sel:WORD_0 src1_sel:DWORD
	v_sub_u16_e32 v4, v12, v4
	v_lshrrev_b32_e32 v35, 22, v35
	v_mul_u32_u24_sdwa v37, v10, s0 dst_sel:DWORD dst_unused:UNUSED_PAD src0_sel:WORD_0 src1_sel:DWORD
	v_and_b32_e32 v4, 0xff, v4
	v_mul_lo_u16_e32 v35, 0x66, v35
	v_lshrrev_b32_e32 v37, 22, v37
	v_mul_u32_u24_sdwa v39, v9, s0 dst_sel:DWORD dst_unused:UNUSED_PAD src0_sel:WORD_0 src1_sel:DWORD
	s_waitcnt lgkmcnt(0)
	; wave barrier
	s_waitcnt lgkmcnt(0)
	global_load_dword v27, v[7:8], off offset:340
	global_load_dword v29, v[7:8], off offset:544
	v_lshlrev_b32_e32 v34, 2, v4
	v_sub_u16_e32 v35, v11, v35
	v_mul_lo_u16_e32 v37, 0x66, v37
	v_lshrrev_b32_e32 v39, 22, v39
	v_lshlrev_b32_e32 v36, 2, v35
	v_sub_u16_e32 v37, v10, v37
	global_load_dword v34, v34, s[12:13] offset:340
	v_mul_lo_u16_e32 v39, 0x66, v39
	global_load_dword v36, v36, s[12:13] offset:340
	v_lshlrev_b32_e32 v38, 2, v37
	global_load_dword v38, v38, s[12:13] offset:340
	v_sub_u16_e32 v39, v9, v39
	v_lshlrev_b32_e32 v40, 2, v39
	global_load_dword v40, v40, s[12:13] offset:340
	ds_read_u16 v41, v0
	ds_read_u16 v42, v0 offset:102
	ds_read_u16 v43, v0 offset:204
	;; [unrolled: 1-line block ×15, first 2 shown]
	v_lshl_add_u32 v4, v4, 1, 0
	s_waitcnt lgkmcnt(0)
	; wave barrier
	s_waitcnt vmcnt(5) lgkmcnt(0)
	v_mul_f16_sdwa v57, v49, v27 dst_sel:DWORD dst_unused:UNUSED_PAD src0_sel:DWORD src1_sel:WORD_1
	v_mul_f16_sdwa v58, v33, v27 dst_sel:DWORD dst_unused:UNUSED_PAD src0_sel:DWORD src1_sel:WORD_1
	;; [unrolled: 1-line block ×4, first 2 shown]
	s_waitcnt vmcnt(4)
	v_mul_f16_sdwa v59, v50, v29 dst_sel:DWORD dst_unused:UNUSED_PAD src0_sel:DWORD src1_sel:WORD_1
	v_mul_f16_sdwa v60, v32, v29 dst_sel:DWORD dst_unused:UNUSED_PAD src0_sel:DWORD src1_sel:WORD_1
	;; [unrolled: 1-line block ×4, first 2 shown]
	v_fma_f16 v33, v33, v27, -v57
	v_fma_f16 v49, v49, v27, v58
	v_fma_f16 v31, v31, v27, -v61
	v_fma_f16 v27, v51, v27, v62
	s_waitcnt vmcnt(3)
	v_mul_f16_sdwa v51, v53, v34 dst_sel:DWORD dst_unused:UNUSED_PAD src0_sel:DWORD src1_sel:WORD_1
	v_fma_f16 v32, v32, v29, -v59
	v_fma_f16 v50, v50, v29, v60
	v_fma_f16 v30, v30, v29, -v63
	v_fma_f16 v29, v52, v29, v64
	v_mul_f16_sdwa v52, v28, v34 dst_sel:DWORD dst_unused:UNUSED_PAD src0_sel:DWORD src1_sel:WORD_1
	s_waitcnt vmcnt(2)
	v_mul_f16_sdwa v57, v54, v36 dst_sel:DWORD dst_unused:UNUSED_PAD src0_sel:DWORD src1_sel:WORD_1
	v_fma_f16 v28, v28, v34, -v51
	v_sub_f16_e32 v33, v23, v33
	v_mul_f16_sdwa v58, v26, v36 dst_sel:DWORD dst_unused:UNUSED_PAD src0_sel:DWORD src1_sel:WORD_1
	s_waitcnt vmcnt(1)
	v_mul_f16_sdwa v59, v55, v38 dst_sel:DWORD dst_unused:UNUSED_PAD src0_sel:DWORD src1_sel:WORD_1
	v_fma_f16 v26, v26, v36, -v57
	v_sub_f16_e32 v28, v19, v28
	v_mul_f16_sdwa v60, v25, v38 dst_sel:DWORD dst_unused:UNUSED_PAD src0_sel:DWORD src1_sel:WORD_1
	s_waitcnt vmcnt(0)
	v_mul_f16_sdwa v61, v56, v40 dst_sel:DWORD dst_unused:UNUSED_PAD src0_sel:DWORD src1_sel:WORD_1
	v_fma_f16 v23, v23, 2.0, -v33
	v_fma_f16 v25, v25, v38, -v59
	v_sub_f16_e32 v32, v22, v32
	v_sub_f16_e32 v31, v21, v31
	;; [unrolled: 1-line block ×3, first 2 shown]
	v_fma_f16 v19, v19, 2.0, -v28
	v_sub_f16_e32 v26, v18, v26
	v_mul_f16_sdwa v62, v24, v40 dst_sel:DWORD dst_unused:UNUSED_PAD src0_sel:DWORD src1_sel:WORD_1
	v_fma_f16 v24, v24, v40, -v61
	v_fma_f16 v22, v22, 2.0, -v32
	v_fma_f16 v21, v21, 2.0, -v31
	;; [unrolled: 1-line block ×4, first 2 shown]
	v_sub_f16_e32 v25, v17, v25
	ds_write_b16 v0, v23
	ds_write_b16 v0, v33 offset:204
	ds_write_b16 v0, v22 offset:102
	ds_write_b16 v0, v32 offset:306
	ds_write_b16 v0, v21 offset:408
	ds_write_b16 v0, v31 offset:612
	ds_write_b16 v0, v20 offset:510
	ds_write_b16 v0, v30 offset:714
	ds_write_b16 v4, v19 offset:816
	ds_write_b16 v4, v28 offset:1020
	v_lshl_add_u32 v19, v35, 1, 0
	v_sub_f16_e32 v49, v41, v49
	v_fma_f16 v34, v53, v34, v52
	v_fma_f16 v36, v54, v36, v58
	;; [unrolled: 1-line block ×4, first 2 shown]
	v_fma_f16 v17, v17, 2.0, -v25
	v_sub_f16_e32 v24, v16, v24
	ds_write_b16 v19, v18 offset:816
	ds_write_b16 v19, v26 offset:1020
	v_lshl_add_u32 v18, v37, 1, 0
	v_fma_f16 v41, v41, 2.0, -v49
	v_sub_f16_e32 v50, v42, v50
	v_sub_f16_e32 v27, v43, v27
	;; [unrolled: 1-line block ×7, first 2 shown]
	v_fma_f16 v16, v16, 2.0, -v24
	ds_write_b16 v18, v17 offset:1224
	ds_write_b16 v18, v25 offset:1428
	v_lshl_add_u32 v17, v39, 1, 0
	v_fma_f16 v42, v42, 2.0, -v50
	v_fma_f16 v43, v43, 2.0, -v27
	;; [unrolled: 1-line block ×7, first 2 shown]
	ds_write_b16 v17, v16 offset:1224
	ds_write_b16 v17, v24 offset:1428
	s_waitcnt lgkmcnt(0)
	; wave barrier
	s_waitcnt lgkmcnt(0)
	ds_read_u16 v16, v0
	ds_read_u16 v20, v0 offset:102
	ds_read_u16 v21, v0 offset:204
	;; [unrolled: 1-line block ×15, first 2 shown]
	s_waitcnt lgkmcnt(0)
	; wave barrier
	s_waitcnt lgkmcnt(0)
	ds_write_b16 v0, v41
	ds_write_b16 v0, v49 offset:204
	ds_write_b16 v0, v42 offset:102
	;; [unrolled: 1-line block ×15, first 2 shown]
	s_waitcnt lgkmcnt(0)
	; wave barrier
	s_waitcnt lgkmcnt(0)
	global_load_dword v4, v[7:8], off offset:748
	global_load_dword v17, v[7:8], off offset:952
	;; [unrolled: 1-line block ×4, first 2 shown]
	ds_read_u16 v27, v0
	ds_read_u16 v29, v0 offset:102
	ds_read_u16 v34, v0 offset:204
	;; [unrolled: 1-line block ×15, first 2 shown]
	s_waitcnt lgkmcnt(0)
	; wave barrier
	s_waitcnt vmcnt(3) lgkmcnt(0)
	v_mul_f16_sdwa v51, v43, v4 dst_sel:DWORD dst_unused:UNUSED_PAD src0_sel:DWORD src1_sel:WORD_1
	v_fma_f16 v51, v28, v4, -v51
	v_mul_f16_sdwa v28, v28, v4 dst_sel:DWORD dst_unused:UNUSED_PAD src0_sel:DWORD src1_sel:WORD_1
	v_fma_f16 v28, v43, v4, v28
	s_waitcnt vmcnt(2)
	v_mul_f16_sdwa v43, v44, v17 dst_sel:DWORD dst_unused:UNUSED_PAD src0_sel:DWORD src1_sel:WORD_1
	v_fma_f16 v43, v30, v17, -v43
	v_mul_f16_sdwa v30, v30, v17 dst_sel:DWORD dst_unused:UNUSED_PAD src0_sel:DWORD src1_sel:WORD_1
	v_fma_f16 v30, v44, v17, v30
	s_waitcnt vmcnt(1)
	;; [unrolled: 5-line block ×3, first 2 shown]
	v_mul_f16_sdwa v45, v46, v19 dst_sel:DWORD dst_unused:UNUSED_PAD src0_sel:DWORD src1_sel:WORD_1
	v_fma_f16 v45, v32, v19, -v45
	v_mul_f16_sdwa v32, v32, v19 dst_sel:DWORD dst_unused:UNUSED_PAD src0_sel:DWORD src1_sel:WORD_1
	v_fma_f16 v32, v46, v19, v32
	v_mul_f16_sdwa v46, v47, v4 dst_sel:DWORD dst_unused:UNUSED_PAD src0_sel:DWORD src1_sel:WORD_1
	v_fma_f16 v46, v33, v4, -v46
	v_mul_f16_sdwa v33, v33, v4 dst_sel:DWORD dst_unused:UNUSED_PAD src0_sel:DWORD src1_sel:WORD_1
	v_fma_f16 v4, v47, v4, v33
	;; [unrolled: 4-line block ×3, first 2 shown]
	v_mul_f16_sdwa v35, v49, v18 dst_sel:DWORD dst_unused:UNUSED_PAD src0_sel:DWORD src1_sel:WORD_1
	v_sub_f16_e32 v47, v27, v28
	v_fma_f16 v35, v37, v18, -v35
	v_mul_f16_sdwa v37, v37, v18 dst_sel:DWORD dst_unused:UNUSED_PAD src0_sel:DWORD src1_sel:WORD_1
	v_fma_f16 v48, v27, 2.0, -v47
	v_sub_f16_e32 v27, v20, v43
	v_sub_f16_e32 v43, v29, v30
	;; [unrolled: 1-line block ×3, first 2 shown]
	v_fma_f16 v18, v49, v18, v37
	v_mul_f16_sdwa v37, v50, v19 dst_sel:DWORD dst_unused:UNUSED_PAD src0_sel:DWORD src1_sel:WORD_1
	v_sub_f16_e32 v28, v21, v44
	v_sub_f16_e32 v44, v38, v4
	v_fma_f16 v4, v23, 2.0, -v30
	v_sub_f16_e32 v23, v24, v33
	v_fma_f16 v37, v39, v19, -v37
	v_mul_f16_sdwa v39, v39, v19 dst_sel:DWORD dst_unused:UNUSED_PAD src0_sel:DWORD src1_sel:WORD_1
	v_sub_f16_e32 v33, v40, v17
	v_fma_f16 v17, v24, 2.0, -v23
	v_sub_f16_e32 v24, v25, v35
	v_fma_f16 v19, v50, v19, v39
	v_sub_f16_e32 v39, v16, v51
	v_fma_f16 v49, v29, 2.0, -v43
	v_sub_f16_e32 v29, v22, v45
	v_sub_f16_e32 v35, v41, v18
	v_fma_f16 v18, v25, 2.0, -v24
	v_sub_f16_e32 v25, v26, v37
	v_fma_f16 v16, v16, 2.0, -v39
	v_fma_f16 v20, v20, 2.0, -v27
	v_fma_f16 v21, v21, 2.0, -v28
	v_fma_f16 v22, v22, 2.0, -v29
	v_sub_f16_e32 v37, v42, v19
	v_fma_f16 v19, v26, 2.0, -v25
	ds_write_b16 v0, v16
	ds_write_b16 v0, v39 offset:408
	ds_write_b16 v0, v20 offset:102
	;; [unrolled: 1-line block ×15, first 2 shown]
	s_waitcnt lgkmcnt(0)
	; wave barrier
	s_waitcnt lgkmcnt(0)
	ds_read_u16 v4, v0
	ds_read_u16 v17, v0 offset:102
	ds_read_u16 v18, v0 offset:204
	;; [unrolled: 1-line block ×15, first 2 shown]
	v_sub_f16_e32 v31, v34, v31
	v_sub_f16_e32 v32, v36, v32
	v_fma_f16 v34, v34, 2.0, -v31
	v_fma_f16 v36, v36, 2.0, -v32
	;; [unrolled: 1-line block ×6, first 2 shown]
	s_waitcnt lgkmcnt(0)
	; wave barrier
	s_waitcnt lgkmcnt(0)
	ds_write_b16 v0, v48
	ds_write_b16 v0, v47 offset:408
	ds_write_b16 v0, v49 offset:102
	;; [unrolled: 1-line block ×15, first 2 shown]
	s_waitcnt lgkmcnt(0)
	; wave barrier
	s_waitcnt lgkmcnt(0)
	s_and_saveexec_b64 s[0:1], vcc
	s_cbranch_execz .LBB0_25
; %bb.24:
	global_load_dword v31, v[7:8], off offset:2992
	global_load_dword v32, v[7:8], off offset:2788
	;; [unrolled: 1-line block ×8, first 2 shown]
	v_mul_lo_u32 v38, s5, v5
	v_mul_lo_u32 v39, s4, v6
	v_mad_u64_u32 v[5:6], s[0:1], s4, v5, 0
	ds_read_u16 v7, v0 offset:1530
	ds_read_u16 v8, v0 offset:1428
	;; [unrolled: 1-line block ×8, first 2 shown]
	v_add3_u32 v6, v6, v39, v38
	s_waitcnt vmcnt(7)
	v_lshrrev_b32_e32 v38, 16, v31
	s_waitcnt lgkmcnt(7)
	v_mul_f16_e32 v39, v31, v7
	s_waitcnt vmcnt(6)
	v_lshrrev_b32_e32 v47, 16, v32
	s_waitcnt lgkmcnt(6)
	v_mul_f16_e32 v48, v32, v8
	;; [unrolled: 4-line block ×4, first 2 shown]
	v_mul_f16_e32 v7, v38, v7
	v_fma_f16 v38, v30, v38, v39
	v_mul_f16_e32 v8, v47, v8
	v_fma_f16 v39, v29, v47, v48
	;; [unrolled: 2-line block ×4, first 2 shown]
	ds_read_u16 v50, v0 offset:714
	ds_read_u16 v53, v0 offset:612
	s_waitcnt vmcnt(2)
	v_lshrrev_b32_e32 v55, 16, v36
	v_lshrrev_b32_e32 v51, 16, v34
	v_mul_f16_e32 v52, v34, v42
	s_waitcnt lgkmcnt(4)
	v_mul_f16_e32 v56, v36, v44
	v_mul_f16_e32 v44, v55, v44
	;; [unrolled: 1-line block ×3, first 2 shown]
	v_fma_f16 v48, v27, v51, v52
	v_fma_f16 v51, v25, v55, v56
	v_fma_f16 v7, v30, v31, -v7
	ds_read_u16 v31, v0 offset:510
	s_waitcnt lgkmcnt(2)
	v_sub_f16_e32 v30, v50, v38
	v_fma_f16 v8, v29, v32, -v8
	ds_read_u16 v32, v0 offset:408
	ds_read_u16 v38, v0 offset:306
	s_waitcnt lgkmcnt(3)
	v_sub_f16_e32 v29, v53, v39
	ds_read_u16 v39, v0 offset:204
	v_fma_f16 v25, v25, v36, -v44
	ds_read_u16 v36, v0 offset:102
	s_waitcnt vmcnt(1)
	v_lshrrev_b32_e32 v57, 16, v37
	v_fma_f16 v26, v26, v35, -v43
	v_sub_f16_e32 v43, v24, v7
	v_mul_f16_e32 v7, v37, v45
	v_mul_f16_e32 v52, v57, v45
	v_fma_f16 v7, v21, v57, v7
	v_fma_f16 v28, v28, v33, -v41
	s_waitcnt lgkmcnt(4)
	v_sub_f16_e32 v33, v31, v47
	v_fma_f16 v27, v27, v34, -v42
	v_fma_f16 v42, v21, v37, -v52
	ds_read_u16 v21, v0
	v_sub_f16_e32 v47, v23, v8
	s_waitcnt lgkmcnt(1)
	v_sub_f16_e32 v37, v36, v7
	s_waitcnt vmcnt(0)
	v_lshrrev_b32_e32 v45, 16, v40
	v_mad_u64_u32 v[7:8], s[0:1], s20, v3, 0
	v_mul_f16_e32 v0, v45, v46
	v_fma_f16 v0, v16, v40, -v0
	v_sub_f16_e32 v41, v39, v51
	v_sub_f16_e32 v51, v4, v0
	;; [unrolled: 1-line block ×4, first 2 shown]
	v_fma_f16 v52, v4, 2.0, -v51
	v_mul_f16_e32 v4, v40, v46
	v_mov_b32_e32 v0, v8
	v_sub_f16_e32 v35, v38, v49
	v_fma_f16 v44, v50, 2.0, -v30
	v_fma_f16 v49, v18, 2.0, -v25
	;; [unrolled: 1-line block ×3, first 2 shown]
	v_mad_u64_u32 v[17:18], s[0:1], s21, v3, v[0:1]
	v_fma_f16 v0, v16, v45, v4
	v_lshlrev_b64 v[4:5], 2, v[5:6]
	s_waitcnt lgkmcnt(0)
	v_sub_f16_e32 v16, v21, v0
	v_mov_b32_e32 v0, s11
	v_add_co_u32_e32 v4, vcc, s10, v4
	v_addc_co_u32_e32 v5, vcc, v0, v5, vcc
	v_lshlrev_b64 v[0:1], 2, v[1:2]
	v_mov_b32_e32 v8, v17
	v_add_co_u32_e32 v17, vcc, v4, v0
	v_add_u32_e32 v2, 0x198, v3
	v_fma_f16 v18, v21, 2.0, -v16
	v_addc_co_u32_e32 v21, vcc, v5, v1, vcc
	v_lshlrev_b64 v[0:1], 2, v[7:8]
	v_mad_u64_u32 v[4:5], s[0:1], s20, v2, 0
	v_add_co_u32_e32 v0, vcc, v17, v0
	v_addc_co_u32_e32 v1, vcc, v21, v1, vcc
	v_pack_b32_f16 v6, v52, v18
	global_store_dword v[0:1], v6, off
	v_mov_b32_e32 v0, v5
	v_mad_u64_u32 v[0:1], s[0:1], s21, v2, v[0:1]
	v_mad_u64_u32 v[1:2], s[0:1], s20, v15, 0
	v_mov_b32_e32 v5, v0
	v_lshlrev_b64 v[4:5], 2, v[4:5]
	v_mov_b32_e32 v0, v2
	v_mad_u64_u32 v[6:7], s[2:3], s21, v15, v[0:1]
	v_add_co_u32_e32 v4, vcc, v17, v4
	v_addc_co_u32_e32 v5, vcc, v21, v5, vcc
	v_pack_b32_f16 v0, v51, v16
	v_mov_b32_e32 v2, v6
	v_add_u32_e32 v6, 0x1cb, v3
	global_store_dword v[4:5], v0, off
	v_mad_u64_u32 v[4:5], s[2:3], s20, v6, 0
	v_lshlrev_b64 v[0:1], 2, v[1:2]
	v_fma_f16 v36, v36, 2.0, -v37
	v_mov_b32_e32 v2, v5
	v_mad_u64_u32 v[5:6], s[2:3], s21, v6, v[2:3]
	v_mad_u64_u32 v[6:7], s[2:3], s20, v14, 0
	v_add_co_u32_e32 v0, vcc, v17, v0
	v_addc_co_u32_e32 v1, vcc, v21, v1, vcc
	v_pack_b32_f16 v8, v50, v36
	v_mov_b32_e32 v2, v7
	global_store_dword v[0:1], v8, off
	v_lshlrev_b64 v[0:1], 2, v[4:5]
	v_mad_u64_u32 v[4:5], s[2:3], s21, v14, v[2:3]
	v_add_co_u32_e32 v0, vcc, v17, v0
	v_addc_co_u32_e32 v1, vcc, v21, v1, vcc
	v_pack_b32_f16 v2, v42, v37
	v_mov_b32_e32 v7, v4
	global_store_dword v[0:1], v2, off
	v_lshlrev_b64 v[0:1], 2, v[6:7]
	v_add_u32_e32 v6, 0x1fe, v3
	v_mad_u64_u32 v[4:5], s[2:3], s20, v6, 0
	v_fma_f16 v39, v39, 2.0, -v41
	v_add_co_u32_e32 v0, vcc, v17, v0
	v_mov_b32_e32 v2, v5
	v_mad_u64_u32 v[5:6], s[2:3], s21, v6, v[2:3]
	v_mad_u64_u32 v[6:7], s[2:3], s20, v13, 0
	v_addc_co_u32_e32 v1, vcc, v21, v1, vcc
	v_pack_b32_f16 v8, v49, v39
	v_mov_b32_e32 v2, v7
	global_store_dword v[0:1], v8, off
	v_lshlrev_b64 v[0:1], 2, v[4:5]
	v_mad_u64_u32 v[4:5], s[2:3], s21, v13, v[2:3]
	v_add_co_u32_e32 v0, vcc, v17, v0
	v_addc_co_u32_e32 v1, vcc, v21, v1, vcc
	v_pack_b32_f16 v2, v25, v41
	v_mov_b32_e32 v7, v4
	global_store_dword v[0:1], v2, off
	v_lshlrev_b64 v[0:1], 2, v[6:7]
	v_add_u32_e32 v6, 0x231, v3
	v_mad_u64_u32 v[4:5], s[2:3], s20, v6, 0
	s_mov_b32 s1, 0xa0a0a0a1
	v_mul_hi_u32 v7, v12, s1
	v_mov_b32_e32 v2, v5
	s_movk_i32 s0, 0x198
	v_mad_u64_u32 v[5:6], s[2:3], s21, v6, v[2:3]
	v_lshrrev_b32_e32 v2, 8, v7
	v_mad_u32_u24 v12, v2, s0, v12
	v_mad_u64_u32 v[6:7], s[2:3], s20, v12, 0
	v_sub_f16_e32 v26, v19, v26
	v_fma_f16 v38, v38, 2.0, -v35
	v_fma_f16 v19, v19, 2.0, -v26
	v_add_co_u32_e32 v0, vcc, v17, v0
	v_addc_co_u32_e32 v1, vcc, v21, v1, vcc
	v_pack_b32_f16 v8, v19, v38
	v_mov_b32_e32 v2, v7
	global_store_dword v[0:1], v8, off
	v_lshlrev_b64 v[0:1], 2, v[4:5]
	v_mad_u64_u32 v[4:5], s[2:3], s21, v12, v[2:3]
	v_add_co_u32_e32 v0, vcc, v17, v0
	v_addc_co_u32_e32 v1, vcc, v21, v1, vcc
	v_pack_b32_f16 v2, v26, v35
	v_mov_b32_e32 v7, v4
	global_store_dword v[0:1], v2, off
	v_lshlrev_b64 v[0:1], 2, v[6:7]
	v_add_u32_e32 v6, 0x198, v12
	v_mad_u64_u32 v[4:5], s[2:3], s20, v6, 0
	v_mul_hi_u32 v7, v11, s1
	v_sub_f16_e32 v34, v32, v48
	v_mov_b32_e32 v2, v5
	v_mad_u64_u32 v[5:6], s[2:3], s21, v6, v[2:3]
	v_lshrrev_b32_e32 v2, 8, v7
	v_mad_u32_u24 v11, v2, s0, v11
	v_mad_u64_u32 v[6:7], s[2:3], s20, v11, 0
	v_sub_f16_e32 v27, v20, v27
	v_fma_f16 v32, v32, 2.0, -v34
	v_fma_f16 v20, v20, 2.0, -v27
	v_add_co_u32_e32 v0, vcc, v17, v0
	v_addc_co_u32_e32 v1, vcc, v21, v1, vcc
	v_pack_b32_f16 v8, v20, v32
	v_mov_b32_e32 v2, v7
	global_store_dword v[0:1], v8, off
	v_lshlrev_b64 v[0:1], 2, v[4:5]
	v_mad_u64_u32 v[4:5], s[2:3], s21, v11, v[2:3]
	v_add_co_u32_e32 v0, vcc, v17, v0
	v_addc_co_u32_e32 v1, vcc, v21, v1, vcc
	v_pack_b32_f16 v2, v27, v34
	v_mov_b32_e32 v7, v4
	global_store_dword v[0:1], v2, off
	v_lshlrev_b64 v[0:1], 2, v[6:7]
	v_add_u32_e32 v6, 0x198, v11
	v_mad_u64_u32 v[4:5], s[2:3], s20, v6, 0
	v_sub_f16_e32 v28, v22, v28
	v_fma_f16 v31, v31, 2.0, -v33
	v_mov_b32_e32 v2, v5
	v_mad_u64_u32 v[5:6], s[2:3], s21, v6, v[2:3]
	v_mad_u64_u32 v[6:7], s[2:3], s20, v10, 0
	v_fma_f16 v22, v22, 2.0, -v28
	v_add_co_u32_e32 v0, vcc, v17, v0
	v_addc_co_u32_e32 v1, vcc, v21, v1, vcc
	v_pack_b32_f16 v8, v22, v31
	v_mov_b32_e32 v2, v7
	global_store_dword v[0:1], v8, off
	v_lshlrev_b64 v[0:1], 2, v[4:5]
	v_mad_u64_u32 v[4:5], s[2:3], s21, v10, v[2:3]
	v_add_co_u32_e32 v0, vcc, v17, v0
	v_addc_co_u32_e32 v1, vcc, v21, v1, vcc
	v_pack_b32_f16 v2, v28, v33
	v_mov_b32_e32 v7, v4
	v_add_u32_e32 v4, 0x2ca, v3
	global_store_dword v[0:1], v2, off
	v_mad_u64_u32 v[2:3], s[2:3], s20, v4, 0
	v_lshlrev_b64 v[0:1], 2, v[6:7]
	v_mul_hi_u32 v5, v9, s1
	v_mad_u64_u32 v[3:4], s[2:3], s21, v4, v[3:4]
	v_fma_f16 v48, v53, 2.0, -v29
	v_fma_f16 v23, v23, 2.0, -v47
	v_add_co_u32_e32 v0, vcc, v17, v0
	v_addc_co_u32_e32 v1, vcc, v21, v1, vcc
	v_pack_b32_f16 v4, v23, v48
	global_store_dword v[0:1], v4, off
	v_lshlrev_b64 v[0:1], 2, v[2:3]
	v_lshrrev_b32_e32 v2, 8, v5
	v_mad_u32_u24 v5, v2, s0, v9
	v_mad_u64_u32 v[2:3], s[0:1], s20, v5, 0
	v_add_u32_e32 v7, 0x198, v5
	v_add_co_u32_e32 v0, vcc, v17, v0
	v_mad_u64_u32 v[3:4], s[0:1], s21, v5, v[3:4]
	v_mad_u64_u32 v[4:5], s[0:1], s20, v7, 0
	v_addc_co_u32_e32 v1, vcc, v21, v1, vcc
	v_pack_b32_f16 v6, v47, v29
	global_store_dword v[0:1], v6, off
	v_lshlrev_b64 v[0:1], 2, v[2:3]
	v_mov_b32_e32 v2, v5
	v_mad_u64_u32 v[2:3], s[0:1], s21, v7, v[2:3]
	v_fma_f16 v24, v24, 2.0, -v43
	v_add_co_u32_e32 v0, vcc, v17, v0
	v_addc_co_u32_e32 v1, vcc, v21, v1, vcc
	v_pack_b32_f16 v3, v24, v44
	v_mov_b32_e32 v5, v2
	global_store_dword v[0:1], v3, off
	v_lshlrev_b64 v[0:1], 2, v[4:5]
	v_pack_b32_f16 v2, v43, v30
	v_add_co_u32_e32 v0, vcc, v17, v0
	v_addc_co_u32_e32 v1, vcc, v21, v1, vcc
	global_store_dword v[0:1], v2, off
.LBB0_25:
	s_endpgm
	.section	.rodata,"a",@progbits
	.p2align	6, 0x0
	.amdhsa_kernel fft_rtc_fwd_len816_factors_17_2_3_2_2_2_wgs_51_tpt_51_halfLds_half_op_CI_CI_sbrr_dirReg
		.amdhsa_group_segment_fixed_size 0
		.amdhsa_private_segment_fixed_size 0
		.amdhsa_kernarg_size 104
		.amdhsa_user_sgpr_count 6
		.amdhsa_user_sgpr_private_segment_buffer 1
		.amdhsa_user_sgpr_dispatch_ptr 0
		.amdhsa_user_sgpr_queue_ptr 0
		.amdhsa_user_sgpr_kernarg_segment_ptr 1
		.amdhsa_user_sgpr_dispatch_id 0
		.amdhsa_user_sgpr_flat_scratch_init 0
		.amdhsa_user_sgpr_private_segment_size 0
		.amdhsa_uses_dynamic_stack 0
		.amdhsa_system_sgpr_private_segment_wavefront_offset 0
		.amdhsa_system_sgpr_workgroup_id_x 1
		.amdhsa_system_sgpr_workgroup_id_y 0
		.amdhsa_system_sgpr_workgroup_id_z 0
		.amdhsa_system_sgpr_workgroup_info 0
		.amdhsa_system_vgpr_workitem_id 0
		.amdhsa_next_free_vgpr 93
		.amdhsa_next_free_sgpr 36
		.amdhsa_reserve_vcc 1
		.amdhsa_reserve_flat_scratch 0
		.amdhsa_float_round_mode_32 0
		.amdhsa_float_round_mode_16_64 0
		.amdhsa_float_denorm_mode_32 3
		.amdhsa_float_denorm_mode_16_64 3
		.amdhsa_dx10_clamp 1
		.amdhsa_ieee_mode 1
		.amdhsa_fp16_overflow 0
		.amdhsa_exception_fp_ieee_invalid_op 0
		.amdhsa_exception_fp_denorm_src 0
		.amdhsa_exception_fp_ieee_div_zero 0
		.amdhsa_exception_fp_ieee_overflow 0
		.amdhsa_exception_fp_ieee_underflow 0
		.amdhsa_exception_fp_ieee_inexact 0
		.amdhsa_exception_int_div_zero 0
	.end_amdhsa_kernel
	.text
.Lfunc_end0:
	.size	fft_rtc_fwd_len816_factors_17_2_3_2_2_2_wgs_51_tpt_51_halfLds_half_op_CI_CI_sbrr_dirReg, .Lfunc_end0-fft_rtc_fwd_len816_factors_17_2_3_2_2_2_wgs_51_tpt_51_halfLds_half_op_CI_CI_sbrr_dirReg
                                        ; -- End function
	.section	.AMDGPU.csdata,"",@progbits
; Kernel info:
; codeLenInByte = 15252
; NumSgprs: 40
; NumVgprs: 93
; ScratchSize: 0
; MemoryBound: 0
; FloatMode: 240
; IeeeMode: 1
; LDSByteSize: 0 bytes/workgroup (compile time only)
; SGPRBlocks: 4
; VGPRBlocks: 23
; NumSGPRsForWavesPerEU: 40
; NumVGPRsForWavesPerEU: 93
; Occupancy: 2
; WaveLimiterHint : 1
; COMPUTE_PGM_RSRC2:SCRATCH_EN: 0
; COMPUTE_PGM_RSRC2:USER_SGPR: 6
; COMPUTE_PGM_RSRC2:TRAP_HANDLER: 0
; COMPUTE_PGM_RSRC2:TGID_X_EN: 1
; COMPUTE_PGM_RSRC2:TGID_Y_EN: 0
; COMPUTE_PGM_RSRC2:TGID_Z_EN: 0
; COMPUTE_PGM_RSRC2:TIDIG_COMP_CNT: 0
	.type	__hip_cuid_5c23799312052195,@object ; @__hip_cuid_5c23799312052195
	.section	.bss,"aw",@nobits
	.globl	__hip_cuid_5c23799312052195
__hip_cuid_5c23799312052195:
	.byte	0                               ; 0x0
	.size	__hip_cuid_5c23799312052195, 1

	.ident	"AMD clang version 19.0.0git (https://github.com/RadeonOpenCompute/llvm-project roc-6.4.0 25133 c7fe45cf4b819c5991fe208aaa96edf142730f1d)"
	.section	".note.GNU-stack","",@progbits
	.addrsig
	.addrsig_sym __hip_cuid_5c23799312052195
	.amdgpu_metadata
---
amdhsa.kernels:
  - .args:
      - .actual_access:  read_only
        .address_space:  global
        .offset:         0
        .size:           8
        .value_kind:     global_buffer
      - .offset:         8
        .size:           8
        .value_kind:     by_value
      - .actual_access:  read_only
        .address_space:  global
        .offset:         16
        .size:           8
        .value_kind:     global_buffer
      - .actual_access:  read_only
        .address_space:  global
        .offset:         24
        .size:           8
        .value_kind:     global_buffer
      - .actual_access:  read_only
        .address_space:  global
        .offset:         32
        .size:           8
        .value_kind:     global_buffer
      - .offset:         40
        .size:           8
        .value_kind:     by_value
      - .actual_access:  read_only
        .address_space:  global
        .offset:         48
        .size:           8
        .value_kind:     global_buffer
      - .actual_access:  read_only
        .address_space:  global
        .offset:         56
        .size:           8
        .value_kind:     global_buffer
      - .offset:         64
        .size:           4
        .value_kind:     by_value
      - .actual_access:  read_only
        .address_space:  global
        .offset:         72
        .size:           8
        .value_kind:     global_buffer
      - .actual_access:  read_only
        .address_space:  global
        .offset:         80
        .size:           8
        .value_kind:     global_buffer
      - .actual_access:  read_only
        .address_space:  global
        .offset:         88
        .size:           8
        .value_kind:     global_buffer
      - .actual_access:  write_only
        .address_space:  global
        .offset:         96
        .size:           8
        .value_kind:     global_buffer
    .group_segment_fixed_size: 0
    .kernarg_segment_align: 8
    .kernarg_segment_size: 104
    .language:       OpenCL C
    .language_version:
      - 2
      - 0
    .max_flat_workgroup_size: 51
    .name:           fft_rtc_fwd_len816_factors_17_2_3_2_2_2_wgs_51_tpt_51_halfLds_half_op_CI_CI_sbrr_dirReg
    .private_segment_fixed_size: 0
    .sgpr_count:     40
    .sgpr_spill_count: 0
    .symbol:         fft_rtc_fwd_len816_factors_17_2_3_2_2_2_wgs_51_tpt_51_halfLds_half_op_CI_CI_sbrr_dirReg.kd
    .uniform_work_group_size: 1
    .uses_dynamic_stack: false
    .vgpr_count:     93
    .vgpr_spill_count: 0
    .wavefront_size: 64
amdhsa.target:   amdgcn-amd-amdhsa--gfx906
amdhsa.version:
  - 1
  - 2
...

	.end_amdgpu_metadata
